;; amdgpu-corpus repo=ROCm/rocFFT kind=compiled arch=gfx1201 opt=O3
	.text
	.amdgcn_target "amdgcn-amd-amdhsa--gfx1201"
	.amdhsa_code_object_version 6
	.protected	bluestein_single_fwd_len1800_dim1_sp_op_CI_CI ; -- Begin function bluestein_single_fwd_len1800_dim1_sp_op_CI_CI
	.globl	bluestein_single_fwd_len1800_dim1_sp_op_CI_CI
	.p2align	8
	.type	bluestein_single_fwd_len1800_dim1_sp_op_CI_CI,@function
bluestein_single_fwd_len1800_dim1_sp_op_CI_CI: ; @bluestein_single_fwd_len1800_dim1_sp_op_CI_CI
; %bb.0:
	s_load_b128 s[12:15], s[0:1], 0x28
	v_mul_u32_u24_e32 v1, 0x16d, v0
	s_mov_b32 s2, exec_lo
	v_mov_b32_e32 v65, 0
	s_delay_alu instid0(VALU_DEP_2) | instskip(NEXT) | instid1(VALU_DEP_1)
	v_lshrrev_b32_e32 v1, 16, v1
	v_add_nc_u32_e32 v64, ttmp9, v1
	s_wait_kmcnt 0x0
	s_delay_alu instid0(VALU_DEP_1)
	v_cmpx_gt_u64_e64 s[12:13], v[64:65]
	s_cbranch_execz .LBB0_18
; %bb.1:
	s_clause 0x1
	s_load_b128 s[4:7], s[0:1], 0x18
	s_load_b128 s[8:11], s[0:1], 0x0
	v_mul_lo_u16 v1, 0xb4, v1
	s_delay_alu instid0(VALU_DEP_1) | instskip(NEXT) | instid1(VALU_DEP_1)
	v_sub_nc_u16 v0, v0, v1
	v_and_b32_e32 v101, 0xffff, v0
	s_wait_kmcnt 0x0
	s_load_b128 s[16:19], s[4:5], 0x0
	s_wait_kmcnt 0x0
	v_mad_co_u64_u32 v[1:2], null, s18, v64, 0
	v_mad_co_u64_u32 v[3:4], null, s16, v101, 0
	s_mul_u64 s[2:3], s[16:17], 0x5a0
	s_delay_alu instid0(VALU_DEP_1) | instskip(NEXT) | instid1(VALU_DEP_1)
	v_mad_co_u64_u32 v[5:6], null, s19, v64, v[2:3]
	v_mov_b32_e32 v2, v5
	s_delay_alu instid0(VALU_DEP_3)
	v_mad_co_u64_u32 v[6:7], null, s17, v101, v[4:5]
	v_lshlrev_b32_e32 v102, 3, v101
	s_clause 0x3
	global_load_b64 v[73:74], v102, s[8:9]
	global_load_b64 v[75:76], v102, s[8:9] offset:1440
	global_load_b64 v[79:80], v102, s[8:9] offset:2880
	;; [unrolled: 1-line block ×3, first 2 shown]
	v_dual_mov_b32 v4, v6 :: v_dual_add_nc_u32 v25, 0xa00, v102
	v_lshlrev_b64_e32 v[1:2], 3, v[1:2]
	s_clause 0x3
	global_load_b64 v[69:70], v102, s[8:9] offset:5760
	global_load_b64 v[71:72], v102, s[8:9] offset:7200
	;; [unrolled: 1-line block ×4, first 2 shown]
	v_lshlrev_b64_e32 v[3:4], 3, v[3:4]
	v_add_co_u32 v1, vcc_lo, s14, v1
	v_add_co_ci_u32_e32 v2, vcc_lo, s15, v2, vcc_lo
	s_delay_alu instid0(VALU_DEP_2) | instskip(SKIP_1) | instid1(VALU_DEP_2)
	v_add_co_u32 v1, vcc_lo, v1, v3
	s_wait_alu 0xfffd
	v_add_co_ci_u32_e32 v2, vcc_lo, v2, v4, vcc_lo
	s_delay_alu instid0(VALU_DEP_2) | instskip(SKIP_1) | instid1(VALU_DEP_2)
	v_add_co_u32 v3, vcc_lo, v1, s2
	s_wait_alu 0xfffd
	v_add_co_ci_u32_e32 v4, vcc_lo, s3, v2, vcc_lo
	global_load_b64 v[1:2], v[1:2], off
	v_add_co_u32 v5, vcc_lo, v3, s2
	s_wait_alu 0xfffd
	v_add_co_ci_u32_e32 v6, vcc_lo, s3, v4, vcc_lo
	s_delay_alu instid0(VALU_DEP_2) | instskip(SKIP_1) | instid1(VALU_DEP_2)
	v_add_co_u32 v7, vcc_lo, v5, s2
	s_wait_alu 0xfffd
	v_add_co_ci_u32_e32 v8, vcc_lo, s3, v6, vcc_lo
	s_delay_alu instid0(VALU_DEP_2) | instskip(SKIP_1) | instid1(VALU_DEP_2)
	v_add_co_u32 v9, vcc_lo, v7, s2
	s_wait_alu 0xfffd
	v_add_co_ci_u32_e32 v10, vcc_lo, s3, v8, vcc_lo
	s_clause 0x2
	global_load_b64 v[3:4], v[3:4], off
	global_load_b64 v[5:6], v[5:6], off
	;; [unrolled: 1-line block ×3, first 2 shown]
	v_add_co_u32 v11, vcc_lo, v9, s2
	s_wait_alu 0xfffd
	v_add_co_ci_u32_e32 v12, vcc_lo, s3, v10, vcc_lo
	global_load_b64 v[9:10], v[9:10], off
	v_add_co_u32 v13, vcc_lo, v11, s2
	s_wait_alu 0xfffd
	v_add_co_ci_u32_e32 v14, vcc_lo, s3, v12, vcc_lo
	global_load_b64 v[11:12], v[11:12], off
	;; [unrolled: 4-line block ×4, first 2 shown]
	v_add_co_u32 v19, vcc_lo, v17, s2
	s_wait_alu 0xfffd
	v_add_co_ci_u32_e32 v20, vcc_lo, s3, v18, vcc_lo
	s_load_b64 s[2:3], s[0:1], 0x38
	v_cmp_gt_u16_e32 vcc_lo, 0x78, v0
	s_wait_loadcnt 0x7
	v_mul_f32_e32 v21, v2, v74
	global_load_b64 v[17:18], v[17:18], off
	s_clause 0x1
	global_load_b64 v[81:82], v102, s[8:9] offset:11520
	global_load_b64 v[83:84], v102, s[8:9] offset:12960
	global_load_b64 v[19:20], v[19:20], off
	v_add_nc_u32_e32 v26, 0x1600, v102
	v_add_nc_u32_e32 v27, 0x2000, v102
	v_dual_fmac_f32 v21, v1, v73 :: v_dual_add_nc_u32 v28, 0x2c00, v102
	v_mul_f32_e32 v22, v1, v74
	s_load_b128 s[4:7], s[6:7], 0x0
	s_wait_loadcnt 0xa
	v_mul_f32_e32 v23, v4, v76
	s_wait_loadcnt 0x9
	v_mul_f32_e32 v1, v6, v80
	v_mul_f32_e32 v24, v3, v76
	v_fma_f32 v22, v2, v73, -v22
	v_dual_mul_f32 v2, v5, v80 :: v_dual_fmac_f32 v23, v3, v75
	s_delay_alu instid0(VALU_DEP_4) | instskip(NEXT) | instid1(VALU_DEP_4)
	v_fmac_f32_e32 v1, v5, v79
	v_fma_f32 v24, v4, v75, -v24
	s_wait_loadcnt 0x8
	v_mul_f32_e32 v4, v7, v66
	v_mul_f32_e32 v3, v8, v66
	s_wait_loadcnt 0x7
	v_mul_f32_e32 v5, v10, v70
	v_fma_f32 v2, v6, v79, -v2
	v_fma_f32 v4, v8, v65, -v4
	s_wait_loadcnt 0x6
	v_mul_f32_e32 v8, v11, v72
	v_dual_mul_f32 v6, v9, v70 :: v_dual_fmac_f32 v3, v7, v65
	v_mul_f32_e32 v7, v12, v72
	s_delay_alu instid0(VALU_DEP_3) | instskip(NEXT) | instid1(VALU_DEP_3)
	v_fma_f32 v8, v12, v71, -v8
	v_fma_f32 v6, v10, v69, -v6
	s_wait_loadcnt 0x5
	s_delay_alu instid0(VALU_DEP_3)
	v_dual_mul_f32 v10, v13, v78 :: v_dual_fmac_f32 v7, v11, v71
	s_wait_loadcnt 0x4
	v_mul_f32_e32 v11, v16, v68
	v_dual_mul_f32 v12, v15, v68 :: v_dual_fmac_f32 v5, v9, v69
	v_mul_f32_e32 v9, v14, v78
	v_fma_f32 v10, v14, v77, -v10
	s_delay_alu instid0(VALU_DEP_4) | instskip(NEXT) | instid1(VALU_DEP_4)
	v_fmac_f32_e32 v11, v15, v67
	v_fma_f32 v12, v16, v67, -v12
	s_delay_alu instid0(VALU_DEP_4)
	v_fmac_f32_e32 v9, v13, v77
	s_wait_loadcnt 0x2
	v_mul_f32_e32 v13, v18, v82
	s_wait_loadcnt 0x0
	v_dual_mul_f32 v14, v17, v82 :: v_dual_mul_f32 v15, v20, v84
	v_mul_f32_e32 v29, v19, v84
	s_delay_alu instid0(VALU_DEP_3) | instskip(NEXT) | instid1(VALU_DEP_3)
	v_fmac_f32_e32 v13, v17, v81
	v_fma_f32 v14, v18, v81, -v14
	s_delay_alu instid0(VALU_DEP_4) | instskip(NEXT) | instid1(VALU_DEP_4)
	v_fmac_f32_e32 v15, v19, v83
	v_fma_f32 v16, v20, v83, -v29
	ds_store_2addr_b64 v102, v[21:22], v[23:24] offset1:180
	ds_store_2addr_b64 v25, v[1:2], v[3:4] offset0:40 offset1:220
	ds_store_2addr_b64 v26, v[5:6], v[7:8] offset0:16 offset1:196
	ds_store_2addr_b64 v27, v[9:10], v[11:12] offset0:56 offset1:236
	ds_store_2addr_b64 v28, v[13:14], v[15:16] offset0:32 offset1:212
	global_wb scope:SCOPE_SE
	s_wait_dscnt 0x0
	s_wait_kmcnt 0x0
	s_barrier_signal -1
	s_barrier_wait -1
	global_inv scope:SCOPE_SE
	ds_load_2addr_b64 v[1:4], v102 offset1:180
	ds_load_2addr_b64 v[5:8], v25 offset0:40 offset1:220
	ds_load_2addr_b64 v[9:12], v26 offset0:16 offset1:196
	ds_load_2addr_b64 v[13:16], v27 offset0:56 offset1:236
	ds_load_2addr_b64 v[17:20], v28 offset0:32 offset1:212
	v_mul_lo_u16 v21, v0, 10
	global_wb scope:SCOPE_SE
	s_wait_dscnt 0x0
	s_barrier_signal -1
	s_barrier_wait -1
	global_inv scope:SCOPE_SE
	v_dual_add_f32 v30, v2, v6 :: v_dual_and_b32 v21, 0xffff, v21
	v_dual_sub_f32 v25, v5, v9 :: v_dual_sub_f32 v48, v11, v15
	v_add_f32_e32 v22, v9, v13
	v_dual_sub_f32 v26, v17, v13 :: v_dual_add_f32 v31, v10, v14
	v_sub_f32_e32 v52, v16, v20
	v_dual_sub_f32 v40, v12, v16 :: v_dual_lshlrev_b32 v105, 3, v21
	v_dual_sub_f32 v42, v19, v15 :: v_dual_add_f32 v21, v1, v5
	v_dual_sub_f32 v44, v11, v7 :: v_dual_sub_f32 v23, v6, v18
	v_dual_add_f32 v46, v4, v8 :: v_dual_add_f32 v27, v5, v17
	v_sub_f32_e32 v50, v20, v16
	v_sub_f32_e32 v28, v9, v5
	;; [unrolled: 1-line block ×4, first 2 shown]
	v_dual_sub_f32 v32, v9, v13 :: v_dual_add_f32 v37, v3, v7
	v_add_f32_e32 v9, v21, v9
	v_fma_f32 v21, -0.5, v22, v1
	v_add_f32_e32 v22, v25, v26
	v_fma_f32 v26, -0.5, v31, v2
	v_sub_f32_e32 v49, v8, v12
	v_add_f32_e32 v51, v8, v20
	v_sub_f32_e32 v39, v8, v20
	v_sub_f32_e32 v8, v12, v8
	;; [unrolled: 1-line block ×4, first 2 shown]
	v_dual_sub_f32 v45, v15, v19 :: v_dual_sub_f32 v34, v18, v14
	s_delay_alu instid0(VALU_DEP_4) | instskip(SKIP_2) | instid1(VALU_DEP_4)
	v_dual_add_f32 v8, v8, v52 :: v_dual_add_f32 v35, v6, v18
	v_sub_f32_e32 v6, v10, v6
	v_add_f32_e32 v10, v30, v10
	v_add_f32_e32 v30, v44, v45
	v_dual_add_f32 v47, v12, v16 :: v_dual_sub_f32 v36, v14, v18
	v_add_f32_e32 v38, v11, v15
	s_delay_alu instid0(VALU_DEP_4)
	v_dual_add_f32 v10, v10, v14 :: v_dual_sub_f32 v41, v7, v11
	v_dual_add_f32 v43, v7, v19 :: v_dual_add_f32 v12, v46, v12
	v_fma_f32 v25, -0.5, v27, v1
	v_sub_f32_e32 v7, v7, v19
	v_add_f32_e32 v1, v28, v29
	v_fma_f32 v28, -0.5, v35, v2
	v_fma_f32 v31, -0.5, v47, v4
	v_add_f32_e32 v2, v6, v36
	v_add_f32_e32 v6, v37, v11
	v_fma_f32 v11, -0.5, v38, v3
	v_dual_add_f32 v29, v41, v42 :: v_dual_add_f32 v12, v12, v16
	v_fma_f32 v3, -0.5, v43, v3
	v_dual_add_f32 v27, v33, v34 :: v_dual_fmamk_f32 v34, v24, 0xbf737871, v25
	v_fmamk_f32 v14, v5, 0xbf737871, v26
	v_dual_add_f32 v33, v49, v50 :: v_dual_fmamk_f32 v16, v7, 0xbf737871, v31
	v_fmamk_f32 v35, v32, 0x3f737871, v28
	v_fmac_f32_e32 v26, 0x3f737871, v5
	v_fmac_f32_e32 v4, -0.5, v51
	v_fmac_f32_e32 v28, 0xbf737871, v32
	s_delay_alu instid0(VALU_DEP_4) | instskip(SKIP_2) | instid1(VALU_DEP_3)
	v_dual_fmac_f32 v16, 0xbf167918, v48 :: v_dual_fmac_f32 v35, 0xbf167918, v5
	v_add_f32_e32 v9, v9, v13
	v_dual_fmamk_f32 v13, v23, 0x3f737871, v21 :: v_dual_add_f32 v10, v10, v18
	v_dual_fmac_f32 v16, 0x3e9e377a, v33 :: v_dual_fmac_f32 v35, 0x3e9e377a, v2
	v_dual_fmamk_f32 v37, v48, 0x3f737871, v4 :: v_dual_add_f32 v6, v6, v15
	v_fmamk_f32 v36, v40, 0xbf737871, v3
	s_delay_alu instid0(VALU_DEP_4) | instskip(NEXT) | instid1(VALU_DEP_3)
	v_dual_fmac_f32 v13, 0x3f167918, v24 :: v_dual_fmac_f32 v28, 0x3f167918, v5
	v_fmac_f32_e32 v37, 0xbf167918, v7
	v_fmac_f32_e32 v21, 0xbf737871, v23
	v_dual_fmac_f32 v26, 0x3f167918, v32 :: v_dual_add_f32 v5, v6, v19
	v_fmac_f32_e32 v36, 0x3f167918, v39
	s_delay_alu instid0(VALU_DEP_4) | instskip(SKIP_3) | instid1(VALU_DEP_4)
	v_fmac_f32_e32 v37, 0x3e9e377a, v8
	v_dual_fmamk_f32 v15, v39, 0x3f737871, v11 :: v_dual_add_f32 v6, v12, v20
	v_fmac_f32_e32 v25, 0x3f737871, v24
	v_fmac_f32_e32 v4, 0xbf737871, v48
	v_mul_f32_e32 v18, 0x3f737871, v37
	s_delay_alu instid0(VALU_DEP_4) | instskip(SKIP_3) | instid1(VALU_DEP_4)
	v_fmac_f32_e32 v15, 0x3f167918, v40
	v_dual_fmac_f32 v28, 0x3e9e377a, v2 :: v_dual_add_f32 v9, v9, v17
	v_fmac_f32_e32 v34, 0x3f167918, v23
	v_fmac_f32_e32 v14, 0xbf167918, v32
	v_dual_fmac_f32 v15, 0x3e9e377a, v29 :: v_dual_add_f32 v2, v10, v6
	v_fmac_f32_e32 v25, 0xbf167918, v23
	s_delay_alu instid0(VALU_DEP_4) | instskip(NEXT) | instid1(VALU_DEP_3)
	v_dual_fmac_f32 v13, 0x3e9e377a, v22 :: v_dual_fmac_f32 v34, 0x3e9e377a, v1
	v_mul_f32_e32 v17, 0x3f4f1bbd, v15
	v_mul_f32_e32 v15, 0xbf167918, v15
	s_delay_alu instid0(VALU_DEP_4) | instskip(NEXT) | instid1(VALU_DEP_3)
	v_dual_fmac_f32 v25, 0x3e9e377a, v1 :: v_dual_fmac_f32 v14, 0x3e9e377a, v27
	v_dual_fmac_f32 v4, 0x3f167918, v7 :: v_dual_fmac_f32 v17, 0x3f167918, v16
	v_fmac_f32_e32 v31, 0x3f737871, v7
	s_delay_alu instid0(VALU_DEP_4) | instskip(SKIP_1) | instid1(VALU_DEP_4)
	v_fmac_f32_e32 v15, 0x3f4f1bbd, v16
	v_fmac_f32_e32 v3, 0x3f737871, v40
	;; [unrolled: 1-line block ×3, first 2 shown]
	s_delay_alu instid0(VALU_DEP_4) | instskip(SKIP_1) | instid1(VALU_DEP_4)
	v_dual_sub_f32 v16, v13, v17 :: v_dual_fmac_f32 v31, 0x3f167918, v48
	v_fmac_f32_e32 v36, 0x3e9e377a, v30
	v_fmac_f32_e32 v3, 0xbf167918, v39
	v_dual_add_f32 v1, v9, v5 :: v_dual_fmac_f32 v26, 0x3e9e377a, v27
	s_delay_alu instid0(VALU_DEP_4) | instskip(SKIP_1) | instid1(VALU_DEP_4)
	v_fmac_f32_e32 v31, 0x3e9e377a, v33
	v_sub_f32_e32 v7, v9, v5
	v_fmac_f32_e32 v3, 0x3e9e377a, v30
	v_mul_f32_e32 v9, 0x3e9e377a, v4
	v_fmac_f32_e32 v11, 0xbf737871, v39
	v_fmac_f32_e32 v18, 0x3e9e377a, v36
	v_mul_f32_e32 v19, 0xbf737871, v36
	v_mul_f32_e32 v5, 0x3e9e377a, v3
	v_fma_f32 v23, 0xbf737871, v3, -v9
	v_fmac_f32_e32 v21, 0xbf167918, v24
	v_fmac_f32_e32 v11, 0xbf167918, v40
	v_add_f32_e32 v9, v34, v18
	v_sub_f32_e32 v18, v34, v18
	s_delay_alu instid0(VALU_DEP_4) | instskip(NEXT) | instid1(VALU_DEP_4)
	v_dual_add_f32 v12, v28, v23 :: v_dual_fmac_f32 v21, 0x3e9e377a, v22
	v_dual_fmac_f32 v11, 0x3e9e377a, v29 :: v_dual_sub_f32 v8, v10, v6
	v_mul_f32_e32 v10, 0x3f4f1bbd, v31
	v_fma_f32 v20, 0x3f737871, v4, -v5
	v_fmac_f32_e32 v19, 0x3e9e377a, v37
	s_delay_alu instid0(VALU_DEP_4) | instskip(NEXT) | instid1(VALU_DEP_4)
	v_dual_mul_f32 v6, 0x3f4f1bbd, v11 :: v_dual_add_f32 v3, v13, v17
	v_fma_f32 v24, 0xbf167918, v11, -v10
	s_delay_alu instid0(VALU_DEP_4) | instskip(NEXT) | instid1(VALU_DEP_3)
	v_dual_add_f32 v4, v14, v15 :: v_dual_add_f32 v11, v25, v20
	v_fma_f32 v22, 0x3f167918, v31, -v6
	v_add_f32_e32 v10, v35, v19
	s_delay_alu instid0(VALU_DEP_4)
	v_add_f32_e32 v6, v26, v24
	v_sub_f32_e32 v17, v14, v15
	v_sub_f32_e32 v19, v35, v19
	v_add_f32_e32 v5, v21, v22
	v_sub_f32_e32 v20, v25, v20
	v_dual_sub_f32 v22, v21, v22 :: v_dual_sub_f32 v21, v28, v23
	v_sub_f32_e32 v23, v26, v24
	ds_store_b128 v105, v[1:4]
	ds_store_b128 v105, v[9:12] offset:16
	ds_store_b128 v105, v[5:8] offset:32
	;; [unrolled: 1-line block ×4, first 2 shown]
	global_wb scope:SCOPE_SE
	s_wait_dscnt 0x0
	s_barrier_signal -1
	s_barrier_wait -1
	global_inv scope:SCOPE_SE
	ds_load_b64 v[24:25], v102
	ds_load_b64 v[38:39], v102 offset:2400
	ds_load_b64 v[36:37], v102 offset:4800
	;; [unrolled: 1-line block ×5, first 2 shown]
                                        ; implicit-def: $vgpr26
                                        ; implicit-def: $vgpr28
	s_and_saveexec_b32 s0, vcc_lo
	s_cbranch_execz .LBB0_3
; %bb.2:
	ds_load_b64 v[16:17], v102 offset:1440
	ds_load_b64 v[18:19], v102 offset:3840
	;; [unrolled: 1-line block ×6, first 2 shown]
.LBB0_3:
	s_wait_alu 0xfffe
	s_or_b32 exec_lo, exec_lo, s0
	v_and_b32_e32 v41, 0xff, v101
	v_add_co_u32 v40, null, 0xb4, v101
	s_delay_alu instid0(VALU_DEP_2) | instskip(NEXT) | instid1(VALU_DEP_1)
	v_mul_lo_u16 v0, 0xcd, v41
	v_lshrrev_b16 v44, 11, v0
	s_delay_alu instid0(VALU_DEP_3) | instskip(NEXT) | instid1(VALU_DEP_2)
	v_and_b32_e32 v0, 0xffff, v40
	v_mul_lo_u16 v1, v44, 10
	s_delay_alu instid0(VALU_DEP_2) | instskip(NEXT) | instid1(VALU_DEP_2)
	v_mul_u32_u24_e32 v0, 0xcccd, v0
	v_sub_nc_u16 v1, v101, v1
	s_delay_alu instid0(VALU_DEP_2) | instskip(NEXT) | instid1(VALU_DEP_2)
	v_lshrrev_b32_e32 v103, 19, v0
	v_and_b32_e32 v45, 0xff, v1
	s_delay_alu instid0(VALU_DEP_2) | instskip(NEXT) | instid1(VALU_DEP_2)
	v_mul_lo_u16 v2, v103, 10
	v_mad_co_u64_u32 v[0:1], null, v45, 40, s[10:11]
	s_delay_alu instid0(VALU_DEP_2) | instskip(NEXT) | instid1(VALU_DEP_1)
	v_sub_nc_u16 v104, v40, v2
	v_mul_lo_u16 v2, v104, 40
	s_clause 0x2
	global_load_b128 v[12:15], v[0:1], off
	global_load_b128 v[8:11], v[0:1], off offset:16
	global_load_b64 v[87:88], v[0:1], off offset:32
	v_and_b32_e32 v2, 0xffff, v2
	s_delay_alu instid0(VALU_DEP_1)
	v_add_co_u32 v42, s0, s10, v2
	s_wait_alu 0xf1ff
	v_add_co_ci_u32_e64 v43, null, s11, 0, s0
	s_clause 0x2
	global_load_b128 v[4:7], v[42:43], off
	global_load_b128 v[0:3], v[42:43], off offset:16
	global_load_b64 v[85:86], v[42:43], off offset:32
	v_and_b32_e32 v42, 0xffff, v44
	global_wb scope:SCOPE_SE
	s_wait_loadcnt_dscnt 0x0
	s_barrier_signal -1
	s_barrier_wait -1
	global_inv scope:SCOPE_SE
	v_mul_f32_e32 v43, v37, v15
	v_mul_f32_e32 v47, v34, v9
	v_mul_u32_u24_e32 v42, 60, v42
	v_dual_mul_f32 v46, v35, v9 :: v_dual_mul_f32 v51, v30, v88
	v_mul_f32_e32 v48, v33, v11
	v_dual_mul_f32 v49, v32, v11 :: v_dual_mul_f32 v50, v31, v88
	s_delay_alu instid0(VALU_DEP_4) | instskip(SKIP_4) | instid1(VALU_DEP_4)
	v_add_lshl_u32 v106, v42, v45, 3
	v_dual_mul_f32 v42, v39, v13 :: v_dual_mul_f32 v45, v36, v15
	v_mul_f32_e32 v44, v38, v13
	v_fma_f32 v36, v36, v14, -v43
	v_fmac_f32_e32 v47, v35, v8
	v_fma_f32 v52, v38, v12, -v42
	s_delay_alu instid0(VALU_DEP_4)
	v_dual_fmac_f32 v45, v37, v14 :: v_dual_fmac_f32 v44, v39, v12
	v_fmac_f32_e32 v49, v33, v10
	v_fma_f32 v37, v34, v8, -v46
	v_fma_f32 v35, v32, v10, -v48
	v_fma_f32 v38, v30, v87, -v50
	v_dual_fmac_f32 v51, v31, v87 :: v_dual_mul_f32 v34, v22, v1
	v_dual_mul_f32 v39, v19, v5 :: v_dual_mul_f32 v42, v21, v7
	v_dual_mul_f32 v30, v18, v5 :: v_dual_mul_f32 v33, v20, v7
	;; [unrolled: 1-line block ×3, first 2 shown]
	v_mul_f32_e32 v32, v28, v86
	v_dual_mul_f32 v46, v27, v3 :: v_dual_add_f32 v55, v25, v45
	v_dual_mul_f32 v31, v26, v3 :: v_dual_add_f32 v50, v24, v36
	v_dual_add_f32 v53, v36, v35 :: v_dual_sub_f32 v54, v45, v49
	v_dual_add_f32 v45, v45, v49 :: v_dual_sub_f32 v36, v36, v35
	v_dual_add_f32 v56, v52, v37 :: v_dual_add_f32 v57, v37, v38
	v_dual_sub_f32 v58, v47, v51 :: v_dual_sub_f32 v37, v37, v38
	v_dual_add_f32 v59, v44, v47 :: v_dual_fmac_f32 v30, v19, v4
	v_dual_add_f32 v47, v47, v51 :: v_dual_fmac_f32 v32, v29, v85
	v_fma_f32 v20, v20, v6, -v42
	v_dual_fmac_f32 v33, v21, v6 :: v_dual_fmac_f32 v34, v23, v0
	v_fma_f32 v21, v22, v0, -v43
	v_fma_f32 v19, v26, v2, -v46
	v_dual_fmac_f32 v31, v27, v2 :: v_dual_fmac_f32 v52, -0.5, v57
	v_fma_f32 v22, v28, v85, -v48
	v_dual_fmac_f32 v25, -0.5, v45 :: v_dual_add_f32 v26, v56, v38
	v_fma_f32 v18, v18, v4, -v39
	v_add_f32_e32 v23, v50, v35
	v_fma_f32 v39, -0.5, v53, v24
	v_add_f32_e32 v24, v55, v49
	v_dual_add_f32 v27, v59, v51 :: v_dual_add_f32 v46, v21, v22
	v_dual_fmac_f32 v44, -0.5, v47 :: v_dual_sub_f32 v47, v34, v32
	v_dual_add_f32 v28, v20, v19 :: v_dual_sub_f32 v49, v21, v22
	v_dual_sub_f32 v29, v33, v31 :: v_dual_add_f32 v48, v34, v32
	v_sub_f32_e32 v45, v20, v19
	v_fmamk_f32 v51, v36, 0xbf5db3d7, v25
	v_dual_fmac_f32 v25, 0x3f5db3d7, v36 :: v_dual_fmamk_f32 v36, v58, 0x3f5db3d7, v52
	v_dual_fmac_f32 v52, 0xbf5db3d7, v58 :: v_dual_add_f32 v35, v33, v31
	v_fmamk_f32 v50, v54, 0x3f5db3d7, v39
	v_dual_fmac_f32 v39, 0xbf5db3d7, v54 :: v_dual_add_f32 v38, v24, v27
	v_dual_fmamk_f32 v53, v37, 0xbf5db3d7, v44 :: v_dual_sub_f32 v42, v23, v26
	v_dual_fmac_f32 v44, 0x3f5db3d7, v37 :: v_dual_add_f32 v37, v23, v26
	v_dual_sub_f32 v43, v24, v27 :: v_dual_mul_f32 v56, -0.5, v52
	v_fma_f32 v23, -0.5, v28, v16
	v_fma_f32 v54, -0.5, v46, v18
	;; [unrolled: 1-line block ×3, first 2 shown]
	v_mul_f32_e32 v57, 0xbf5db3d7, v36
	v_fma_f32 v24, -0.5, v35, v17
	v_mul_f32_e32 v48, 0x3f5db3d7, v53
	v_mul_f32_e32 v58, -0.5, v44
	v_dual_fmamk_f32 v26, v29, 0x3f5db3d7, v23 :: v_dual_fmamk_f32 v59, v47, 0x3f5db3d7, v54
	v_fmac_f32_e32 v54, 0xbf5db3d7, v47
	v_fmamk_f32 v60, v49, 0xbf5db3d7, v55
	v_dual_fmac_f32 v55, 0x3f5db3d7, v49 :: v_dual_fmac_f32 v48, 0.5, v36
	v_dual_fmac_f32 v56, 0x3f5db3d7, v44 :: v_dual_fmac_f32 v57, 0.5, v53
	v_fmac_f32_e32 v23, 0xbf5db3d7, v29
	v_dual_fmamk_f32 v27, v45, 0xbf5db3d7, v24 :: v_dual_mul_f32 v28, -0.5, v54
	v_dual_fmac_f32 v58, 0xbf5db3d7, v52 :: v_dual_mul_f32 v35, 0xbf5db3d7, v59
	v_dual_fmac_f32 v24, 0x3f5db3d7, v45 :: v_dual_mul_f32 v29, 0x3f5db3d7, v60
	v_dual_add_f32 v45, v51, v57 :: v_dual_mul_f32 v36, -0.5, v55
	s_delay_alu instid0(VALU_DEP_3) | instskip(NEXT) | instid1(VALU_DEP_3)
	v_dual_add_f32 v47, v25, v58 :: v_dual_add_f32 v46, v39, v56
	v_fmac_f32_e32 v29, 0.5, v59
	v_dual_fmac_f32 v28, 0x3f5db3d7, v55 :: v_dual_fmac_f32 v35, 0.5, v60
	s_delay_alu instid0(VALU_DEP_4)
	v_fmac_f32_e32 v36, 0xbf5db3d7, v54
	v_dual_add_f32 v44, v50, v48 :: v_dual_sub_f32 v49, v51, v57
	v_dual_sub_f32 v48, v50, v48 :: v_dual_sub_f32 v51, v25, v58
	v_dual_sub_f32 v50, v39, v56 :: v_dual_sub_f32 v91, v26, v29
	v_sub_f32_e32 v93, v23, v28
	v_sub_f32_e32 v92, v27, v35
	;; [unrolled: 1-line block ×3, first 2 shown]
	ds_store_2addr_b64 v106, v[37:38], v[44:45] offset1:10
	ds_store_2addr_b64 v106, v[46:47], v[42:43] offset0:20 offset1:30
	ds_store_2addr_b64 v106, v[48:49], v[50:51] offset0:40 offset1:50
	s_and_saveexec_b32 s0, vcc_lo
	s_cbranch_execz .LBB0_5
; %bb.4:
	v_dual_add_f32 v17, v17, v33 :: v_dual_add_f32 v16, v16, v20
	s_delay_alu instid0(VALU_DEP_1) | instskip(NEXT) | instid1(VALU_DEP_1)
	v_dual_add_f32 v25, v30, v34 :: v_dual_add_f32 v20, v17, v31
	v_dual_add_f32 v18, v18, v21 :: v_dual_add_f32 v25, v25, v32
	v_mad_u16 v21, v103, 60, v104
	s_delay_alu instid0(VALU_DEP_4) | instskip(NEXT) | instid1(VALU_DEP_3)
	v_add_f32_e32 v30, v16, v19
	v_dual_add_f32 v19, v24, v36 :: v_dual_add_f32 v18, v18, v22
	s_delay_alu instid0(VALU_DEP_4) | instskip(NEXT) | instid1(VALU_DEP_4)
	v_sub_f32_e32 v17, v20, v25
	v_dual_add_f32 v21, v27, v35 :: v_dual_and_b32 v22, 0xffff, v21
	s_delay_alu instid0(VALU_DEP_3) | instskip(SKIP_2) | instid1(VALU_DEP_4)
	v_dual_add_f32 v25, v20, v25 :: v_dual_add_f32 v24, v30, v18
	v_sub_f32_e32 v16, v30, v18
	v_add_f32_e32 v20, v26, v29
	v_lshlrev_b32_e32 v22, 3, v22
	v_add_f32_e32 v18, v23, v28
	ds_store_2addr_b64 v22, v[24:25], v[20:21] offset1:10
	ds_store_2addr_b64 v22, v[18:19], v[16:17] offset0:20 offset1:30
	ds_store_2addr_b64 v22, v[91:92], v[93:94] offset0:40 offset1:50
.LBB0_5:
	s_wait_alu 0xfffe
	s_or_b32 exec_lo, exec_lo, s0
	v_mul_lo_u16 v16, 0x89, v41
	global_wb scope:SCOPE_SE
	s_wait_dscnt 0x0
	s_barrier_signal -1
	s_barrier_wait -1
	global_inv scope:SCOPE_SE
	v_lshrrev_b16 v34, 13, v16
	s_delay_alu instid0(VALU_DEP_1) | instskip(NEXT) | instid1(VALU_DEP_1)
	v_mul_lo_u16 v16, v34, 60
	v_sub_nc_u16 v16, v101, v16
	s_delay_alu instid0(VALU_DEP_1) | instskip(NEXT) | instid1(VALU_DEP_1)
	v_and_b32_e32 v45, 0xff, v16
	v_mad_co_u64_u32 v[32:33], null, 0x48, v45, s[10:11]
	s_clause 0x4
	global_load_b128 v[28:31], v[32:33], off offset:400
	global_load_b128 v[24:27], v[32:33], off offset:416
	;; [unrolled: 1-line block ×4, first 2 shown]
	global_load_b64 v[89:90], v[32:33], off offset:464
	v_and_b32_e32 v41, 0xffff, v34
	ds_load_2addr_b64 v[32:35], v102 offset1:180
	s_wait_loadcnt_dscnt 0x400
	v_dual_mul_f32 v59, v34, v29 :: v_dual_add_nc_u32 v36, 0xa00, v102
	ds_load_2addr_b64 v[36:39], v36 offset0:40 offset1:220
	v_add_nc_u32_e32 v42, 0x1600, v102
	v_dual_mul_f32 v58, v35, v29 :: v_dual_add_nc_u32 v47, 0x2000, v102
	v_add_nc_u32_e32 v56, 0xb00, v102
	s_delay_alu instid0(VALU_DEP_2)
	v_fma_f32 v58, v34, v28, -v58
	s_wait_loadcnt_dscnt 0x300
	v_dual_mul_f32 v63, v38, v25 :: v_dual_mul_f32 v60, v37, v31
	v_mul_u32_u24_e32 v46, 0x258, v41
	v_mul_f32_e32 v61, v36, v31
	ds_load_2addr_b64 v[41:44], v42 offset0:16 offset1:196
	v_dual_mul_f32 v62, v39, v25 :: v_dual_add_nc_u32 v49, 0x2c00, v102
	v_add_lshl_u32 v107, v46, v45, 3
	ds_load_2addr_b64 v[45:48], v47 offset0:56 offset1:236
	v_add_nc_u32_e32 v57, 0x2400, v102
	v_add_nc_u32_e32 v108, 0x1800, v102
	v_fma_f32 v34, v36, v30, -v60
	v_add_nc_u32_e32 v53, 0x400, v107
	s_wait_loadcnt_dscnt 0x201
	v_dual_mul_f32 v97, v44, v21 :: v_dual_add_nc_u32 v54, 0x800, v107
	v_mul_f32_e32 v96, v41, v27
	ds_load_2addr_b64 v[49:52], v49 offset0:32 offset1:212
	v_dual_mul_f32 v95, v42, v27 :: v_dual_mul_f32 v98, v43, v21
	s_wait_dscnt 0x1
	v_mul_f32_e32 v99, v46, v23
	s_wait_loadcnt 0x1
	v_dual_mul_f32 v100, v45, v23 :: v_dual_mul_f32 v109, v48, v17
	v_dual_mul_f32 v110, v47, v17 :: v_dual_add_nc_u32 v55, 0xc00, v107
	v_dual_fmac_f32 v59, v35, v28 :: v_dual_fmac_f32 v96, v42, v26
	v_fma_f32 v35, v38, v24, -v62
	s_delay_alu instid0(VALU_DEP_4)
	v_dual_fmac_f32 v63, v39, v24 :: v_dual_fmac_f32 v100, v46, v22
	v_fma_f32 v36, v41, v26, -v95
	v_fmac_f32_e32 v98, v44, v20
	v_fma_f32 v38, v45, v22, -v99
	v_fmac_f32_e32 v110, v48, v16
	v_fma_f32 v39, v47, v16, -v109
	v_add_f32_e32 v60, v96, v100
	v_add_f32_e32 v122, v59, v63
	s_wait_dscnt 0x0
	v_mul_f32_e32 v111, v50, v19
	s_wait_loadcnt 0x0
	v_dual_mul_f32 v112, v49, v19 :: v_dual_mul_f32 v113, v52, v90
	v_mul_f32_e32 v114, v51, v90
	v_fmac_f32_e32 v61, v37, v30
	v_fma_f32 v41, v49, v18, -v111
	v_fma_f32 v37, v43, v20, -v97
	;; [unrolled: 1-line block ×3, first 2 shown]
	v_fmac_f32_e32 v114, v52, v89
	v_dual_fmac_f32 v112, v50, v18 :: v_dual_sub_f32 v95, v61, v96
	v_dual_add_f32 v43, v32, v34 :: v_dual_add_f32 v52, v33, v61
	v_dual_sub_f32 v46, v96, v100 :: v_dual_add_f32 v49, v34, v41
	v_dual_sub_f32 v47, v34, v36 :: v_dual_sub_f32 v48, v41, v38
	s_delay_alu instid0(VALU_DEP_4)
	v_dual_add_f32 v44, v36, v38 :: v_dual_sub_f32 v45, v61, v112
	v_dual_sub_f32 v50, v36, v34 :: v_dual_sub_f32 v51, v38, v41
	v_dual_sub_f32 v34, v34, v41 :: v_dual_sub_f32 v97, v112, v100
	v_dual_sub_f32 v62, v36, v38 :: v_dual_add_f32 v99, v61, v112
	v_dual_sub_f32 v61, v96, v61 :: v_dual_sub_f32 v116, v98, v110
	v_dual_sub_f32 v109, v100, v112 :: v_dual_sub_f32 v118, v42, v39
	v_add_f32_e32 v111, v58, v35
	v_dual_add_f32 v113, v37, v39 :: v_dual_sub_f32 v126, v114, v110
	v_dual_sub_f32 v115, v63, v114 :: v_dual_sub_f32 v120, v37, v35
	v_sub_f32_e32 v121, v39, v42
	v_add_f32_e32 v123, v98, v110
	v_sub_f32_e32 v128, v110, v114
	v_add_f32_e32 v36, v43, v36
	v_add_f32_e32 v43, v47, v48
	v_fma_f32 v48, -0.5, v49, v32
	v_add_f32_e32 v127, v63, v114
	v_dual_sub_f32 v117, v35, v37 :: v_dual_sub_f32 v124, v37, v39
	v_add_f32_e32 v119, v35, v42
	v_fma_f32 v129, -0.5, v44, v32
	v_add_f32_e32 v32, v50, v51
	v_dual_add_f32 v44, v52, v96 :: v_dual_sub_f32 v125, v63, v98
	v_dual_sub_f32 v63, v98, v63 :: v_dual_add_f32 v52, v117, v118
	v_fma_f32 v51, -0.5, v60, v33
	v_fma_f32 v50, -0.5, v99, v33
	v_add_f32_e32 v33, v61, v109
	v_dual_add_f32 v37, v111, v37 :: v_dual_add_f32 v36, v36, v38
	v_fma_f32 v49, -0.5, v113, v58
	v_add_f32_e32 v60, v120, v121
	v_dual_add_f32 v47, v95, v97 :: v_dual_add_f32 v96, v125, v126
	v_dual_add_f32 v61, v122, v98 :: v_dual_add_f32 v38, v44, v100
	v_fma_f32 v95, -0.5, v123, v59
	v_dual_fmamk_f32 v98, v46, 0xbf737871, v48 :: v_dual_fmac_f32 v59, -0.5, v127
	v_fmac_f32_e32 v48, 0x3f737871, v46
	v_dual_sub_f32 v35, v35, v42 :: v_dual_fmac_f32 v58, -0.5, v119
	v_dual_add_f32 v63, v63, v128 :: v_dual_fmamk_f32 v100, v62, 0x3f737871, v50
	v_fmamk_f32 v97, v45, 0x3f737871, v129
	v_dual_fmac_f32 v129, 0xbf737871, v45 :: v_dual_fmac_f32 v50, 0xbf737871, v62
	v_add_f32_e32 v37, v37, v39
	v_dual_fmamk_f32 v39, v115, 0x3f737871, v49 :: v_dual_add_f32 v38, v38, v112
	v_dual_add_f32 v61, v61, v110 :: v_dual_fmac_f32 v98, 0x3f167918, v45
	v_fmamk_f32 v110, v124, 0x3f737871, v59
	v_dual_fmamk_f32 v99, v34, 0xbf737871, v51 :: v_dual_fmamk_f32 v44, v116, 0xbf737871, v58
	v_dual_fmac_f32 v51, 0x3f737871, v34 :: v_dual_add_f32 v36, v36, v41
	v_fmac_f32_e32 v49, 0xbf737871, v115
	v_fmac_f32_e32 v58, 0x3f737871, v116
	s_delay_alu instid0(VALU_DEP_4)
	v_dual_fmac_f32 v97, 0x3f167918, v46 :: v_dual_fmac_f32 v44, 0x3f167918, v115
	v_dual_fmac_f32 v129, 0xbf167918, v46 :: v_dual_fmac_f32 v48, 0xbf167918, v45
	v_fmac_f32_e32 v100, 0xbf167918, v34
	v_dual_fmac_f32 v50, 0x3f167918, v34 :: v_dual_fmac_f32 v39, 0x3f167918, v116
	v_dual_add_f32 v34, v37, v42 :: v_dual_fmamk_f32 v109, v35, 0xbf737871, v95
	v_dual_add_f32 v37, v61, v114 :: v_dual_fmac_f32 v110, 0xbf167918, v35
	v_dual_fmac_f32 v99, 0xbf167918, v62 :: v_dual_fmac_f32 v58, 0xbf167918, v115
	v_fmac_f32_e32 v49, 0xbf167918, v116
	v_dual_fmac_f32 v97, 0x3e9e377a, v43 :: v_dual_fmac_f32 v98, 0x3e9e377a, v32
	v_dual_fmac_f32 v129, 0x3e9e377a, v43 :: v_dual_fmac_f32 v48, 0x3e9e377a, v32
	;; [unrolled: 1-line block ×3, first 2 shown]
	v_dual_add_f32 v32, v36, v34 :: v_dual_fmac_f32 v109, 0xbf167918, v124
	v_fmac_f32_e32 v58, 0x3e9e377a, v60
	v_fmac_f32_e32 v49, 0x3e9e377a, v52
	s_delay_alu instid0(VALU_DEP_4) | instskip(SKIP_4) | instid1(VALU_DEP_3)
	v_mul_f32_e32 v52, 0xbf167918, v39
	v_dual_fmac_f32 v99, 0x3e9e377a, v47 :: v_dual_fmac_f32 v100, 0x3e9e377a, v33
	v_dual_fmac_f32 v109, 0x3e9e377a, v96 :: v_dual_fmac_f32 v50, 0x3e9e377a, v33
	v_dual_fmac_f32 v95, 0x3f737871, v35 :: v_dual_sub_f32 v34, v36, v34
	v_mul_f32_e32 v46, 0x3f737871, v110
	v_fmac_f32_e32 v52, 0x3f4f1bbd, v109
	v_fmac_f32_e32 v51, 0x3f167918, v62
	v_dual_add_f32 v33, v38, v37 :: v_dual_mul_f32 v36, 0x3e9e377a, v58
	global_wb scope:SCOPE_SE
	s_barrier_signal -1
	v_fmac_f32_e32 v51, 0x3e9e377a, v47
	v_mul_f32_e32 v45, 0x3f167918, v109
	s_barrier_wait -1
	global_inv scope:SCOPE_SE
	v_fmac_f32_e32 v45, 0x3f4f1bbd, v39
	v_fmac_f32_e32 v59, 0xbf737871, v124
	s_delay_alu instid0(VALU_DEP_1) | instskip(SKIP_1) | instid1(VALU_DEP_1)
	v_fmac_f32_e32 v59, 0x3f167918, v35
	v_dual_fmac_f32 v44, 0x3e9e377a, v60 :: v_dual_sub_f32 v35, v38, v37
	v_dual_fmac_f32 v59, 0x3e9e377a, v63 :: v_dual_fmac_f32 v46, 0x3e9e377a, v44
	v_fmac_f32_e32 v95, 0x3f167918, v124
	s_delay_alu instid0(VALU_DEP_2) | instskip(SKIP_2) | instid1(VALU_DEP_3)
	v_mul_f32_e32 v38, 0x3e9e377a, v59
	v_fma_f32 v59, 0x3f737871, v59, -v36
	v_mul_f32_e32 v60, 0xbf737871, v44
	v_fma_f32 v58, 0xbf737871, v58, -v38
	v_dual_add_f32 v38, v98, v46 :: v_dual_fmac_f32 v95, 0x3e9e377a, v96
	s_delay_alu instid0(VALU_DEP_3) | instskip(NEXT) | instid1(VALU_DEP_3)
	v_fmac_f32_e32 v60, 0x3e9e377a, v110
	v_dual_mul_f32 v37, 0x3f4f1bbd, v49 :: v_dual_add_f32 v42, v50, v58
	s_delay_alu instid0(VALU_DEP_3) | instskip(NEXT) | instid1(VALU_DEP_3)
	v_dual_sub_f32 v50, v50, v58 :: v_dual_mul_f32 v41, 0x3f4f1bbd, v95
	v_add_f32_e32 v39, v100, v60
	s_delay_alu instid0(VALU_DEP_2)
	v_fma_f32 v62, 0xbf167918, v49, -v41
	v_add_f32_e32 v41, v48, v59
	v_sub_f32_e32 v49, v48, v59
	v_sub_f32_e32 v48, v100, v60
	v_fma_f32 v61, 0x3f167918, v95, -v37
	v_add_f32_e32 v37, v99, v52
	v_add_f32_e32 v44, v51, v62
	v_add_co_u32 v95, s0, s8, v102
	s_delay_alu instid0(VALU_DEP_4)
	v_add_f32_e32 v43, v129, v61
	v_sub_f32_e32 v47, v98, v46
	v_sub_f32_e32 v98, v51, v62
	v_add_f32_e32 v36, v97, v45
	v_dual_sub_f32 v45, v97, v45 :: v_dual_sub_f32 v46, v99, v52
	v_sub_f32_e32 v97, v129, v61
	ds_store_2addr_b64 v107, v[32:33], v[36:37] offset1:60
	ds_store_2addr_b64 v107, v[38:39], v[41:42] offset0:120 offset1:180
	ds_store_2addr_b64 v53, v[43:44], v[34:35] offset0:112 offset1:172
	;; [unrolled: 1-line block ×4, first 2 shown]
	global_wb scope:SCOPE_SE
	s_wait_dscnt 0x0
	s_barrier_signal -1
	s_barrier_wait -1
	global_inv scope:SCOPE_SE
	ds_load_2addr_b64 v[52:55], v102 offset1:180
	ds_load_2addr_b64 v[48:51], v56 offset0:8 offset1:248
	ds_load_2addr_b64 v[60:63], v57 offset0:48 offset1:228
	;; [unrolled: 1-line block ×3, first 2 shown]
	ds_load_b64 v[99:100], v102 offset:12480
	s_wait_alu 0xf1ff
	v_add_co_ci_u32_e64 v96, null, s9, 0, s0
	v_cmp_gt_u16_e64 s0, 60, v101
	s_delay_alu instid0(VALU_DEP_1)
	s_and_saveexec_b32 s1, s0
	s_cbranch_execz .LBB0_7
; %bb.6:
	ds_load_b64 v[97:98], v102 offset:4320
	ds_load_b64 v[91:92], v102 offset:9120
	;; [unrolled: 1-line block ×3, first 2 shown]
.LBB0_7:
	s_wait_alu 0xfffe
	s_or_b32 exec_lo, exec_lo, s1
	v_lshlrev_b32_e32 v32, 4, v101
	v_lshlrev_b32_e32 v33, 4, v40
	s_clause 0x1
	global_load_b128 v[44:47], v32, s[10:11] offset:4720
	global_load_b128 v[40:43], v33, s[10:11] offset:4720
	s_wait_loadcnt_dscnt 0x102
	v_dual_mul_f32 v110, v50, v45 :: v_dual_mul_f32 v111, v61, v47
	v_dual_mul_f32 v109, v51, v45 :: v_dual_add_nc_u32 v32, 0x1680, v32
	s_wait_loadcnt_dscnt 0x1
	v_dual_mul_f32 v112, v60, v47 :: v_dual_mul_f32 v113, v57, v41
	v_dual_mul_f32 v114, v56, v41 :: v_dual_mul_f32 v115, v63, v43
	global_load_b128 v[36:39], v32, s[10:11] offset:4720
	v_add_co_u32 v32, s1, 0x21c, v101
	s_wait_alu 0xf1ff
	v_add_co_ci_u32_e64 v33, null, 0, 0, s1
	v_add_co_u32 v34, s1, 0xffffffc4, v101
	s_wait_alu 0xf1ff
	v_add_co_ci_u32_e64 v35, null, 0, -1, s1
	v_fma_f32 v50, v50, v44, -v109
	s_delay_alu instid0(VALU_DEP_3) | instskip(SKIP_1) | instid1(VALU_DEP_4)
	v_cndmask_b32_e64 v32, v34, v32, s0
	v_fmac_f32_e32 v110, v51, v44
	v_cndmask_b32_e64 v33, v35, v33, s0
	v_fma_f32 v51, v60, v46, -v111
	v_fmac_f32_e32 v112, v61, v46
	v_fma_f32 v56, v56, v40, -v113
	v_fmac_f32_e32 v114, v57, v40
	v_lshlrev_b64_e32 v[32:33], 4, v[32:33]
	v_fma_f32 v57, v62, v42, -v115
	s_delay_alu instid0(VALU_DEP_2) | instskip(SKIP_1) | instid1(VALU_DEP_3)
	v_add_co_u32 v32, s1, s10, v32
	s_wait_alu 0xf1ff
	v_add_co_ci_u32_e64 v33, s1, s11, v33, s1
	global_load_b128 v[32:35], v[32:33], off offset:4720
	s_wait_loadcnt_dscnt 0x100
	v_mul_f32_e32 v113, v99, v39
	v_mul_f32_e32 v60, v59, v37
	;; [unrolled: 1-line block ×5, first 2 shown]
	v_fmac_f32_e32 v113, v100, v38
	v_fma_f32 v111, v58, v36, -v60
	v_fmac_f32_e32 v109, v59, v36
	v_dual_fmac_f32 v116, v63, v42 :: v_dual_add_f32 v59, v50, v51
	v_fma_f32 v115, v99, v38, -v61
	v_add_f32_e32 v58, v52, v50
	v_dual_add_f32 v62, v110, v112 :: v_dual_add_f32 v63, v56, v57
	v_dual_sub_f32 v100, v110, v112 :: v_dual_add_f32 v61, v53, v110
	v_dual_sub_f32 v110, v50, v51 :: v_dual_add_f32 v99, v55, v114
	v_sub_f32_e32 v117, v114, v116
	v_add_f32_e32 v114, v114, v116
	v_add_f32_e32 v60, v58, v51
	v_fma_f32 v58, -0.5, v59, v52
	v_fma_f32 v59, -0.5, v62, v53
	v_dual_add_f32 v53, v111, v115 :: v_dual_add_f32 v50, v54, v56
	v_dual_fmac_f32 v55, -0.5, v114 :: v_dual_sub_f32 v56, v56, v57
	v_dual_add_f32 v61, v61, v112 :: v_dual_add_f32 v52, v48, v111
	s_delay_alu instid0(VALU_DEP_3)
	v_add_f32_e32 v62, v50, v57
	s_wait_loadcnt 0x0
	v_dual_add_f32 v112, v49, v109 :: v_dual_mul_f32 v119, v94, v35
	v_mul_f32_e32 v118, v92, v33
	v_dual_mul_f32 v51, v91, v33 :: v_dual_mul_f32 v50, v93, v35
	v_fma_f32 v54, -0.5, v63, v54
	v_add_f32_e32 v63, v99, v116
	v_sub_f32_e32 v57, v109, v113
	v_add_f32_e32 v114, v109, v113
	s_delay_alu instid0(VALU_DEP_4)
	v_dual_sub_f32 v116, v111, v115 :: v_dual_fmamk_f32 v109, v117, 0x3f5db3d7, v54
	v_fmamk_f32 v99, v100, 0x3f5db3d7, v58
	v_dual_fmac_f32 v58, 0xbf5db3d7, v100 :: v_dual_add_f32 v111, v52, v115
	v_fma_f32 v48, -0.5, v53, v48
	v_fma_f32 v52, v93, v34, -v119
	v_dual_fmac_f32 v51, v92, v32 :: v_dual_fmac_f32 v50, v94, v34
	v_fmamk_f32 v100, v110, 0xbf5db3d7, v59
	v_fmac_f32_e32 v59, 0x3f5db3d7, v110
	v_fmamk_f32 v110, v56, 0xbf5db3d7, v55
	v_fmac_f32_e32 v55, 0x3f5db3d7, v56
	v_sub_f32_e32 v93, v51, v50
	v_fma_f32 v53, v91, v32, -v118
	v_dual_add_f32 v112, v112, v113 :: v_dual_fmamk_f32 v91, v57, 0x3f5db3d7, v48
	v_dual_fmac_f32 v54, 0xbf5db3d7, v117 :: v_dual_fmac_f32 v49, -0.5, v114
	s_delay_alu instid0(VALU_DEP_3)
	v_sub_f32_e32 v94, v53, v52
	v_dual_fmac_f32 v48, 0xbf5db3d7, v57 :: v_dual_add_f32 v57, v51, v50
	ds_store_b64 v102, v[99:100] offset:4800
	ds_store_b64 v102, v[58:59] offset:9600
	v_fmamk_f32 v92, v116, 0xbf5db3d7, v49
	v_fma_f32 v57, -0.5, v57, v98
	s_delay_alu instid0(VALU_DEP_1) | instskip(SKIP_1) | instid1(VALU_DEP_2)
	v_dual_add_f32 v56, v53, v52 :: v_dual_fmamk_f32 v59, v94, 0xbf5db3d7, v57
	v_fmac_f32_e32 v57, 0x3f5db3d7, v94
	v_fma_f32 v56, -0.5, v56, v97
	s_delay_alu instid0(VALU_DEP_1)
	v_dual_fmac_f32 v49, 0x3f5db3d7, v116 :: v_dual_fmamk_f32 v58, v93, 0x3f5db3d7, v56
	v_fmac_f32_e32 v56, 0xbf5db3d7, v93
	ds_store_2addr_b64 v102, v[60:61], v[62:63] offset1:180
	ds_store_b64 v102, v[54:55] offset:11040
	ds_store_b64 v102, v[111:112] offset:2880
	ds_store_2addr_b64 v108, v[109:110], v[91:92] offset0:12 offset1:192
	ds_store_b64 v102, v[48:49] offset:12480
	s_and_saveexec_b32 s1, s0
	s_cbranch_execz .LBB0_9
; %bb.8:
	v_dual_add_f32 v48, v98, v51 :: v_dual_add_f32 v51, v97, v53
	s_delay_alu instid0(VALU_DEP_1)
	v_dual_add_f32 v49, v48, v50 :: v_dual_add_f32 v48, v51, v52
	ds_store_b64 v102, v[48:49] offset:4320
	ds_store_b64 v102, v[58:59] offset:9120
	ds_store_b64 v102, v[56:57] offset:13920
.LBB0_9:
	s_wait_alu 0xfffe
	s_or_b32 exec_lo, exec_lo, s1
	s_add_nc_u64 s[8:9], s[8:9], 0x3840
	global_wb scope:SCOPE_SE
	s_wait_dscnt 0x0
	s_barrier_signal -1
	s_barrier_wait -1
	global_inv scope:SCOPE_SE
	s_clause 0x9
	global_load_b64 v[52:53], v[95:96], off offset:14400
	global_load_b64 v[54:55], v102, s[8:9] offset:1440
	global_load_b64 v[95:96], v102, s[8:9] offset:2880
	global_load_b64 v[97:98], v102, s[8:9] offset:4320
	global_load_b64 v[99:100], v102, s[8:9] offset:5760
	global_load_b64 v[108:109], v102, s[8:9] offset:7200
	global_load_b64 v[110:111], v102, s[8:9] offset:8640
	global_load_b64 v[112:113], v102, s[8:9] offset:10080
	global_load_b64 v[114:115], v102, s[8:9] offset:11520
	global_load_b64 v[116:117], v102, s[8:9] offset:12960
	ds_load_2addr_b64 v[48:51], v102 offset1:180
	v_add_nc_u32_e32 v120, 0x1600, v102
	s_wait_loadcnt_dscnt 0x900
	v_mul_f32_e32 v60, v49, v53
	s_wait_loadcnt 0x8
	v_dual_mul_f32 v61, v48, v53 :: v_dual_mul_f32 v62, v51, v55
	v_mul_f32_e32 v53, v50, v55
	s_delay_alu instid0(VALU_DEP_3) | instskip(NEXT) | instid1(VALU_DEP_3)
	v_fma_f32 v60, v48, v52, -v60
	v_fmac_f32_e32 v61, v49, v52
	s_delay_alu instid0(VALU_DEP_4) | instskip(NEXT) | instid1(VALU_DEP_4)
	v_fma_f32 v52, v50, v54, -v62
	v_fmac_f32_e32 v53, v51, v54
	ds_store_2addr_b64 v102, v[60:61], v[52:53] offset1:180
	ds_load_2addr_b64 v[52:55], v120 offset0:16 offset1:196
	v_add_nc_u32_e32 v119, 0xa00, v102
	v_add_nc_u32_e32 v121, 0x2000, v102
	ds_load_2addr_b64 v[48:51], v119 offset0:40 offset1:220
	v_add_nc_u32_e32 v122, 0x2c00, v102
	s_wait_loadcnt_dscnt 0x401
	v_dual_mul_f32 v126, v55, v109 :: v_dual_mul_f32 v125, v53, v100
	s_wait_dscnt 0x0
	v_mul_f32_e32 v123, v49, v96
	ds_load_2addr_b64 v[60:63], v121 offset0:56 offset1:236
	ds_load_2addr_b64 v[91:94], v122 offset0:32 offset1:212
	v_mul_f32_e32 v118, v48, v96
	v_mul_f32_e32 v124, v51, v98
	;; [unrolled: 1-line block ×5, first 2 shown]
	v_fmac_f32_e32 v118, v49, v95
	s_wait_loadcnt_dscnt 0x301
	v_mul_f32_e32 v109, v60, v111
	s_wait_loadcnt 0x2
	v_dual_mul_f32 v127, v61, v111 :: v_dual_mul_f32 v128, v63, v113
	s_wait_loadcnt_dscnt 0x100
	v_mul_f32_e32 v129, v92, v115
	v_mul_f32_e32 v111, v62, v113
	s_wait_loadcnt 0x0
	v_dual_mul_f32 v113, v91, v115 :: v_dual_mul_f32 v130, v94, v117
	v_dual_mul_f32 v115, v93, v117 :: v_dual_fmac_f32 v100, v55, v108
	v_fma_f32 v117, v48, v95, -v123
	v_fma_f32 v95, v50, v97, -v124
	v_dual_fmac_f32 v96, v51, v97 :: v_dual_fmac_f32 v109, v61, v110
	v_fma_f32 v97, v52, v99, -v125
	v_dual_fmac_f32 v98, v53, v99 :: v_dual_fmac_f32 v111, v63, v112
	v_fma_f32 v99, v54, v108, -v126
	v_fma_f32 v108, v60, v110, -v127
	;; [unrolled: 1-line block ×4, first 2 shown]
	v_fmac_f32_e32 v113, v92, v114
	v_fma_f32 v114, v93, v116, -v130
	v_fmac_f32_e32 v115, v94, v116
	ds_store_2addr_b64 v119, v[117:118], v[95:96] offset0:40 offset1:220
	ds_store_2addr_b64 v120, v[97:98], v[99:100] offset0:16 offset1:196
	;; [unrolled: 1-line block ×4, first 2 shown]
	global_wb scope:SCOPE_SE
	s_wait_dscnt 0x0
	s_barrier_signal -1
	s_barrier_wait -1
	global_inv scope:SCOPE_SE
	ds_load_2addr_b64 v[48:51], v102 offset1:180
	ds_load_2addr_b64 v[52:55], v119 offset0:40 offset1:220
	ds_load_2addr_b64 v[60:63], v120 offset0:16 offset1:196
	;; [unrolled: 1-line block ×4, first 2 shown]
	global_wb scope:SCOPE_SE
	s_wait_dscnt 0x0
	s_barrier_signal -1
	s_barrier_wait -1
	global_inv scope:SCOPE_SE
	v_add_f32_e32 v99, v48, v52
	v_sub_f32_e32 v110, v52, v60
	v_add_f32_e32 v100, v60, v91
	v_sub_f32_e32 v111, v95, v91
	v_dual_sub_f32 v109, v61, v92 :: v_dual_add_f32 v112, v52, v95
	v_sub_f32_e32 v108, v53, v96
	v_dual_sub_f32 v113, v60, v52 :: v_dual_sub_f32 v118, v53, v61
	v_dual_sub_f32 v114, v91, v95 :: v_dual_add_f32 v115, v49, v53
	v_sub_f32_e32 v52, v52, v95
	v_dual_add_f32 v116, v61, v92 :: v_dual_sub_f32 v117, v60, v91
	v_dual_sub_f32 v119, v96, v92 :: v_dual_add_f32 v122, v50, v54
	v_dual_add_f32 v120, v53, v96 :: v_dual_add_f32 v123, v62, v93
	v_dual_sub_f32 v53, v61, v53 :: v_dual_sub_f32 v124, v55, v98
	v_dual_sub_f32 v121, v92, v96 :: v_dual_sub_f32 v126, v54, v62
	v_dual_sub_f32 v127, v97, v93 :: v_dual_add_f32 v132, v63, v94
	v_add_f32_e32 v131, v51, v55
	v_dual_sub_f32 v135, v98, v94 :: v_dual_add_f32 v60, v99, v60
	v_fma_f32 v99, -0.5, v100, v48
	v_dual_add_f32 v100, v110, v111 :: v_dual_add_f32 v61, v115, v61
	v_fma_f32 v110, -0.5, v112, v48
	v_dual_sub_f32 v125, v63, v94 :: v_dual_add_f32 v128, v54, v97
	v_dual_sub_f32 v129, v62, v54 :: v_dual_sub_f32 v130, v93, v97
	v_sub_f32_e32 v54, v54, v97
	v_dual_sub_f32 v133, v62, v93 :: v_dual_sub_f32 v134, v55, v63
	v_add_f32_e32 v136, v55, v98
	v_dual_sub_f32 v55, v63, v55 :: v_dual_add_f32 v48, v113, v114
	v_dual_sub_f32 v137, v94, v98 :: v_dual_add_f32 v60, v60, v91
	v_fma_f32 v111, -0.5, v116, v49
	v_fma_f32 v113, -0.5, v120, v49
	v_add_f32_e32 v49, v53, v121
	v_dual_add_f32 v53, v122, v62 :: v_dual_fmamk_f32 v120, v109, 0x3f737871, v110
	v_dual_add_f32 v63, v131, v63 :: v_dual_fmac_f32 v110, 0xbf737871, v109
	v_fma_f32 v116, -0.5, v132, v51
	v_dual_add_f32 v112, v118, v119 :: v_dual_add_f32 v115, v129, v130
	v_fma_f32 v62, -0.5, v123, v50
	v_dual_add_f32 v114, v126, v127 :: v_dual_fmac_f32 v51, -0.5, v136
	v_fma_f32 v50, -0.5, v128, v50
	v_fmamk_f32 v119, v108, 0xbf737871, v99
	v_fmac_f32_e32 v99, 0x3f737871, v108
	v_add_f32_e32 v61, v61, v92
	v_dual_fmamk_f32 v122, v117, 0xbf737871, v113 :: v_dual_fmamk_f32 v91, v124, 0xbf737871, v62
	v_dual_add_f32 v53, v53, v93 :: v_dual_fmac_f32 v120, 0xbf167918, v108
	v_dual_add_f32 v93, v60, v95 :: v_dual_fmac_f32 v110, 0x3f167918, v108
	v_fmamk_f32 v123, v54, 0x3f737871, v116
	v_fmac_f32_e32 v116, 0xbf737871, v54
	v_fmac_f32_e32 v113, 0x3f737871, v117
	v_dual_fmamk_f32 v121, v52, 0x3f737871, v111 :: v_dual_fmac_f32 v62, 0x3f737871, v124
	v_fmac_f32_e32 v111, 0xbf737871, v52
	v_dual_fmamk_f32 v92, v125, 0x3f737871, v50 :: v_dual_add_f32 v63, v63, v94
	v_fmamk_f32 v126, v133, 0xbf737871, v51
	v_dual_fmac_f32 v99, 0x3f167918, v109 :: v_dual_fmac_f32 v122, 0x3f167918, v52
	v_add_f32_e32 v94, v61, v96
	v_dual_fmac_f32 v113, 0xbf167918, v52 :: v_dual_fmac_f32 v116, 0xbf167918, v133
	v_add_f32_e32 v52, v53, v97
	v_dual_add_f32 v118, v134, v135 :: v_dual_add_f32 v55, v55, v137
	v_fmac_f32_e32 v126, 0x3f167918, v54
	v_fmac_f32_e32 v50, 0xbf737871, v125
	s_delay_alu instid0(VALU_DEP_4) | instskip(SKIP_1) | instid1(VALU_DEP_3)
	v_dual_add_f32 v60, v93, v52 :: v_dual_fmac_f32 v123, 0x3f167918, v133
	v_dual_fmac_f32 v119, 0xbf167918, v109 :: v_dual_fmac_f32 v92, 0xbf167918, v124
	v_dual_fmac_f32 v121, 0x3f167918, v117 :: v_dual_fmac_f32 v50, 0x3f167918, v124
	s_delay_alu instid0(VALU_DEP_3) | instskip(SKIP_1) | instid1(VALU_DEP_4)
	v_dual_fmac_f32 v123, 0x3e9e377a, v118 :: v_dual_fmac_f32 v126, 0x3e9e377a, v55
	v_dual_fmac_f32 v62, 0x3f167918, v125 :: v_dual_add_f32 v53, v63, v98
	v_dual_fmac_f32 v119, 0x3e9e377a, v100 :: v_dual_fmac_f32 v122, 0x3e9e377a, v49
	s_delay_alu instid0(VALU_DEP_2)
	v_dual_fmac_f32 v99, 0x3e9e377a, v100 :: v_dual_fmac_f32 v62, 0x3e9e377a, v114
	v_dual_fmac_f32 v121, 0x3e9e377a, v112 :: v_dual_fmac_f32 v92, 0x3e9e377a, v115
	v_dual_sub_f32 v93, v93, v52 :: v_dual_mul_f32 v100, 0x3e9e377a, v126
	v_fmac_f32_e32 v51, 0x3f737871, v133
	v_fmac_f32_e32 v111, 0xbf167918, v117
	v_dual_fmac_f32 v120, 0x3e9e377a, v48 :: v_dual_fmac_f32 v113, 0x3e9e377a, v49
	s_delay_alu instid0(VALU_DEP_4) | instskip(NEXT) | instid1(VALU_DEP_4)
	v_fmac_f32_e32 v100, 0x3f737871, v92
	v_fmac_f32_e32 v51, 0xbf167918, v54
	v_add_f32_e32 v61, v94, v53
	v_sub_f32_e32 v94, v94, v53
	v_fmac_f32_e32 v116, 0x3e9e377a, v118
	v_dual_mul_f32 v49, 0xbf737871, v126 :: v_dual_add_f32 v96, v122, v100
	v_fmac_f32_e32 v51, 0x3e9e377a, v55
	v_fmac_f32_e32 v91, 0xbf167918, v125
	;; [unrolled: 1-line block ×4, first 2 shown]
	v_mul_f32_e32 v48, 0xbf167918, v123
	v_fmac_f32_e32 v111, 0x3e9e377a, v112
	v_mul_f32_e32 v52, 0xbf737871, v51
	v_fmac_f32_e32 v49, 0x3e9e377a, v92
	v_mul_f32_e32 v108, 0xbe9e377a, v51
	v_mul_f32_e32 v109, 0xbf4f1bbd, v116
	v_fmac_f32_e32 v91, 0x3e9e377a, v114
	s_delay_alu instid0(VALU_DEP_4) | instskip(NEXT) | instid1(VALU_DEP_4)
	v_dual_fmac_f32 v52, 0xbe9e377a, v50 :: v_dual_add_f32 v95, v120, v49
	v_fmac_f32_e32 v108, 0x3f737871, v50
	s_delay_alu instid0(VALU_DEP_4) | instskip(SKIP_1) | instid1(VALU_DEP_3)
	v_dual_sub_f32 v50, v120, v49 :: v_dual_fmac_f32 v109, 0x3f167918, v62
	v_mul_f32_e32 v53, 0xbf167918, v116
	v_dual_mul_f32 v55, 0x3f167918, v91 :: v_dual_add_f32 v98, v113, v108
	v_fmac_f32_e32 v48, 0x3f4f1bbd, v91
	s_delay_alu instid0(VALU_DEP_3) | instskip(SKIP_1) | instid1(VALU_DEP_2)
	v_dual_add_f32 v92, v111, v109 :: v_dual_fmac_f32 v53, 0xbf4f1bbd, v62
	v_sub_f32_e32 v51, v122, v100
	v_add_f32_e32 v91, v99, v53
	v_fmac_f32_e32 v55, 0x3f4f1bbd, v123
	v_add_f32_e32 v97, v110, v52
	v_sub_f32_e32 v52, v110, v52
	v_add_f32_e32 v62, v119, v48
	s_delay_alu instid0(VALU_DEP_4)
	v_dual_sub_f32 v48, v119, v48 :: v_dual_add_f32 v63, v121, v55
	v_dual_sub_f32 v49, v121, v55 :: v_dual_sub_f32 v54, v99, v53
	v_sub_f32_e32 v53, v113, v108
	v_sub_f32_e32 v55, v111, v109
	ds_store_b128 v105, v[60:63]
	ds_store_b128 v105, v[95:98] offset:16
	ds_store_b128 v105, v[91:94] offset:32
	;; [unrolled: 1-line block ×4, first 2 shown]
	global_wb scope:SCOPE_SE
	s_wait_dscnt 0x0
	s_barrier_signal -1
	s_barrier_wait -1
	global_inv scope:SCOPE_SE
	ds_load_b64 v[60:61], v102
	ds_load_b64 v[97:98], v102 offset:2400
	ds_load_b64 v[95:96], v102 offset:4800
	;; [unrolled: 1-line block ×5, first 2 shown]
	s_and_saveexec_b32 s1, vcc_lo
	s_cbranch_execz .LBB0_11
; %bb.10:
	ds_load_b64 v[48:49], v102 offset:1440
	ds_load_b64 v[50:51], v102 offset:3840
	;; [unrolled: 1-line block ×6, first 2 shown]
.LBB0_11:
	s_wait_alu 0xfffe
	s_or_b32 exec_lo, exec_lo, s1
	s_wait_dscnt 0x3
	v_dual_mul_f32 v99, v13, v98 :: v_dual_mul_f32 v100, v15, v96
	v_mul_f32_e32 v13, v13, v97
	global_wb scope:SCOPE_SE
	s_wait_dscnt 0x0
	s_barrier_signal -1
	v_dual_fmac_f32 v99, v12, v97 :: v_dual_fmac_f32 v100, v14, v95
	v_fma_f32 v12, v12, v98, -v13
	v_mul_f32_e32 v13, v9, v94
	v_mul_f32_e32 v9, v9, v93
	s_barrier_wait -1
	global_inv scope:SCOPE_SE
	v_fmac_f32_e32 v13, v8, v93
	v_fma_f32 v93, v8, v94, -v9
	v_mul_f32_e32 v8, v5, v51
	v_mul_f32_e32 v15, v15, v95
	;; [unrolled: 1-line block ×4, first 2 shown]
	s_delay_alu instid0(VALU_DEP_4) | instskip(NEXT) | instid1(VALU_DEP_4)
	v_fmac_f32_e32 v8, v4, v50
	v_fma_f32 v14, v14, v96, -v15
	v_mul_f32_e32 v15, v11, v92
	v_mul_f32_e32 v11, v11, v91
	v_fmac_f32_e32 v94, v87, v62
	v_fma_f32 v62, v87, v63, -v9
	s_delay_alu instid0(VALU_DEP_4) | instskip(NEXT) | instid1(VALU_DEP_4)
	v_fmac_f32_e32 v15, v10, v91
	v_fma_f32 v10, v10, v92, -v11
	v_mul_f32_e32 v11, v5, v50
	v_dual_mul_f32 v5, v7, v53 :: v_dual_add_f32 v50, v60, v100
	v_mul_f32_e32 v9, v7, v52
	s_delay_alu instid0(VALU_DEP_2) | instskip(NEXT) | instid1(VALU_DEP_3)
	v_dual_fmac_f32 v5, v6, v52 :: v_dual_add_f32 v52, v61, v14
	v_add_f32_e32 v50, v50, v15
	v_fma_f32 v7, v4, v51, -v11
	v_mul_f32_e32 v11, v1, v54
	v_sub_f32_e32 v51, v14, v10
	v_add_f32_e32 v14, v14, v10
	v_mul_f32_e32 v4, v1, v55
	v_fma_f32 v6, v6, v53, -v9
	v_mul_f32_e32 v1, v3, v59
	s_delay_alu instid0(VALU_DEP_4)
	v_dual_fmac_f32 v61, -0.5, v14 :: v_dual_sub_f32 v14, v100, v15
	v_mul_f32_e32 v9, v3, v58
	v_fma_f32 v3, v0, v55, -v11
	v_add_f32_e32 v11, v100, v15
	v_fmac_f32_e32 v4, v0, v54
	v_mul_f32_e32 v0, v86, v57
	v_fmamk_f32 v54, v14, 0x3f5db3d7, v61
	s_delay_alu instid0(VALU_DEP_4) | instskip(NEXT) | instid1(VALU_DEP_1)
	v_fma_f32 v11, -0.5, v11, v60
	v_dual_fmac_f32 v0, v85, v56 :: v_dual_fmamk_f32 v53, v51, 0xbf5db3d7, v11
	v_fmac_f32_e32 v11, 0x3f5db3d7, v51
	v_add_f32_e32 v51, v52, v10
	v_add_f32_e32 v10, v93, v62
	;; [unrolled: 1-line block ×3, first 2 shown]
	s_delay_alu instid0(VALU_DEP_2) | instskip(SKIP_1) | instid1(VALU_DEP_3)
	v_fmac_f32_e32 v12, -0.5, v10
	v_sub_f32_e32 v10, v13, v94
	v_add_f32_e32 v52, v52, v62
	v_add_f32_e32 v15, v13, v94
	;; [unrolled: 1-line block ×3, first 2 shown]
	s_delay_alu instid0(VALU_DEP_4)
	v_fmamk_f32 v55, v10, 0x3f5db3d7, v12
	v_fmac_f32_e32 v1, v2, v58
	v_fma_f32 v2, v2, v59, -v9
	v_dual_mul_f32 v9, v86, v56 :: v_dual_fmac_f32 v12, 0xbf5db3d7, v10
	v_dual_fmac_f32 v99, -0.5, v15 :: v_dual_add_f32 v10, v13, v94
	v_fmac_f32_e32 v61, 0xbf5db3d7, v14
	s_delay_alu instid0(VALU_DEP_3) | instskip(SKIP_1) | instid1(VALU_DEP_4)
	v_fma_f32 v9, v85, v57, -v9
	v_dual_sub_f32 v15, v93, v62 :: v_dual_mul_f32 v14, 0xbf5db3d7, v55
	v_add_f32_e32 v56, v50, v10
	v_sub_f32_e32 v85, v50, v10
	s_delay_alu instid0(VALU_DEP_3) | instskip(NEXT) | instid1(VALU_DEP_1)
	v_fmamk_f32 v13, v15, 0xbf5db3d7, v99
	v_fmac_f32_e32 v14, 0.5, v13
	s_delay_alu instid0(VALU_DEP_1) | instskip(SKIP_3) | instid1(VALU_DEP_3)
	v_add_f32_e32 v58, v53, v14
	v_dual_sub_f32 v87, v53, v14 :: v_dual_add_f32 v14, v3, v9
	v_fmac_f32_e32 v99, 0x3f5db3d7, v15
	v_mul_f32_e32 v15, 0xbf5db3d7, v12
	v_fma_f32 v50, -0.5, v14, v7
	v_sub_f32_e32 v14, v4, v0
	v_dual_mul_f32 v91, -0.5, v12 :: v_dual_add_f32 v12, v5, v1
	s_delay_alu instid0(VALU_DEP_2) | instskip(SKIP_1) | instid1(VALU_DEP_3)
	v_fmamk_f32 v53, v14, 0x3f5db3d7, v50
	v_fmac_f32_e32 v50, 0xbf5db3d7, v14
	v_fma_f32 v10, -0.5, v12, v48
	v_dual_mul_f32 v55, 0.5, v55 :: v_dual_add_f32 v12, v6, v2
	s_delay_alu instid0(VALU_DEP_4) | instskip(SKIP_1) | instid1(VALU_DEP_3)
	v_mul_f32_e32 v14, 0xbf5db3d7, v53
	v_fmac_f32_e32 v91, 0x3f5db3d7, v99
	v_fmac_f32_e32 v55, 0x3f5db3d7, v13
	v_sub_f32_e32 v13, v6, v2
	v_fma_f32 v12, -0.5, v12, v49
	s_delay_alu instid0(VALU_DEP_3) | instskip(SKIP_1) | instid1(VALU_DEP_1)
	v_sub_f32_e32 v88, v54, v55
	v_fmac_f32_e32 v15, -0.5, v99
	v_add_f32_e32 v62, v11, v15
	v_dual_sub_f32 v60, v11, v15 :: v_dual_fmamk_f32 v11, v13, 0xbf5db3d7, v10
	v_add_f32_e32 v15, v4, v0
	v_add_f32_e32 v57, v51, v52
	v_dual_sub_f32 v86, v51, v52 :: v_dual_sub_f32 v51, v5, v1
	v_fmac_f32_e32 v10, 0x3f5db3d7, v13
	s_delay_alu instid0(VALU_DEP_4) | instskip(SKIP_1) | instid1(VALU_DEP_4)
	v_fma_f32 v52, -0.5, v15, v8
	v_sub_f32_e32 v15, v3, v9
	v_fmamk_f32 v13, v51, 0x3f5db3d7, v12
	v_fmac_f32_e32 v12, 0xbf5db3d7, v51
	s_delay_alu instid0(VALU_DEP_3) | instskip(SKIP_3) | instid1(VALU_DEP_4)
	v_fmamk_f32 v92, v15, 0xbf5db3d7, v52
	v_fmac_f32_e32 v52, 0x3f5db3d7, v15
	v_add_f32_e32 v59, v54, v55
	v_dual_mul_f32 v15, 0xbf5db3d7, v50 :: v_dual_mul_f32 v54, 0.5, v53
	v_dual_fmac_f32 v14, 0.5, v92 :: v_dual_mul_f32 v55, -0.5, v50
	v_add_f32_e32 v63, v61, v91
	s_delay_alu instid0(VALU_DEP_3) | instskip(NEXT) | instid1(VALU_DEP_4)
	v_fmac_f32_e32 v15, -0.5, v52
	v_fmac_f32_e32 v54, 0x3f5db3d7, v92
	s_delay_alu instid0(VALU_DEP_4) | instskip(SKIP_1) | instid1(VALU_DEP_3)
	v_dual_sub_f32 v50, v11, v14 :: v_dual_fmac_f32 v55, 0x3f5db3d7, v52
	v_sub_f32_e32 v61, v61, v91
	v_dual_sub_f32 v52, v10, v15 :: v_dual_sub_f32 v51, v13, v54
	ds_store_2addr_b64 v106, v[56:57], v[58:59] offset1:10
	ds_store_2addr_b64 v106, v[62:63], v[85:86] offset0:20 offset1:30
	ds_store_2addr_b64 v106, v[87:88], v[60:61] offset0:40 offset1:50
	v_sub_f32_e32 v53, v12, v55
	s_and_saveexec_b32 s1, vcc_lo
	s_cbranch_execz .LBB0_13
; %bb.12:
	v_dual_add_f32 v6, v49, v6 :: v_dual_add_f32 v3, v7, v3
	s_delay_alu instid0(VALU_DEP_1) | instskip(NEXT) | instid1(VALU_DEP_2)
	v_dual_add_f32 v5, v48, v5 :: v_dual_add_f32 v2, v6, v2
	v_add_f32_e32 v6, v3, v9
	v_add_f32_e32 v4, v8, v4
	s_delay_alu instid0(VALU_DEP_3) | instskip(SKIP_1) | instid1(VALU_DEP_4)
	v_dual_add_f32 v8, v5, v1 :: v_dual_add_f32 v3, v12, v55
	v_add_f32_e32 v5, v13, v54
	v_sub_f32_e32 v1, v2, v6
	s_delay_alu instid0(VALU_DEP_4) | instskip(SKIP_3) | instid1(VALU_DEP_4)
	v_add_f32_e32 v9, v4, v0
	v_mad_u16 v4, v103, 60, v104
	v_add_f32_e32 v7, v2, v6
	v_add_f32_e32 v2, v10, v15
	v_sub_f32_e32 v0, v8, v9
	s_delay_alu instid0(VALU_DEP_4) | instskip(SKIP_2) | instid1(VALU_DEP_3)
	v_and_b32_e32 v12, 0xffff, v4
	v_add_f32_e32 v4, v11, v14
	v_add_f32_e32 v6, v8, v9
	v_lshlrev_b32_e32 v8, 3, v12
	ds_store_2addr_b64 v8, v[6:7], v[4:5] offset1:10
	ds_store_2addr_b64 v8, v[2:3], v[0:1] offset0:20 offset1:30
	ds_store_2addr_b64 v8, v[50:51], v[52:53] offset0:40 offset1:50
.LBB0_13:
	s_wait_alu 0xfffe
	s_or_b32 exec_lo, exec_lo, s1
	global_wb scope:SCOPE_SE
	s_wait_dscnt 0x0
	s_barrier_signal -1
	s_barrier_wait -1
	global_inv scope:SCOPE_SE
	ds_load_2addr_b64 v[0:3], v102 offset1:180
	v_add_nc_u32_e32 v4, 0xa00, v102
	s_wait_dscnt 0x0
	v_dual_mul_f32 v49, v29, v3 :: v_dual_add_nc_u32 v8, 0x1600, v102
	ds_load_2addr_b64 v[4:7], v4 offset0:40 offset1:220
	ds_load_2addr_b64 v[8:11], v8 offset0:16 offset1:196
	v_add_nc_u32_e32 v12, 0x2000, v102
	v_mul_f32_e32 v29, v29, v2
	v_add_nc_u32_e32 v48, 0x2c00, v102
	s_wait_dscnt 0x1
	v_dual_fmac_f32 v49, v28, v2 :: v_dual_mul_f32 v2, v31, v5
	s_delay_alu instid0(VALU_DEP_3)
	v_fma_f32 v3, v28, v3, -v29
	v_mul_f32_e32 v28, v31, v4
	s_wait_dscnt 0x0
	v_mul_f32_e32 v31, v27, v9
	ds_load_2addr_b64 v[12:15], v12 offset0:56 offset1:236
	v_mul_f32_e32 v27, v27, v8
	ds_load_2addr_b64 v[54:57], v48 offset0:32 offset1:212
	v_mul_f32_e32 v29, v25, v7
	v_dual_mul_f32 v25, v25, v6 :: v_dual_fmac_f32 v2, v30, v4
	v_mul_f32_e32 v48, v21, v11
	v_mul_f32_e32 v21, v21, v10
	v_fma_f32 v4, v30, v5, -v28
	v_fmac_f32_e32 v29, v24, v6
	v_fma_f32 v5, v24, v7, -v25
	v_dual_fmac_f32 v31, v26, v8 :: v_dual_fmac_f32 v48, v20, v10
	v_fma_f32 v6, v26, v9, -v27
	v_add_f32_e32 v25, v1, v4
	global_wb scope:SCOPE_SE
	s_wait_dscnt 0x0
	s_barrier_signal -1
	s_barrier_wait -1
	global_inv scope:SCOPE_SE
	v_mul_f32_e32 v7, v23, v13
	v_dual_mul_f32 v8, v23, v12 :: v_dual_mul_f32 v9, v17, v15
	v_fma_f32 v10, v20, v11, -v21
	s_delay_alu instid0(VALU_DEP_3) | instskip(NEXT) | instid1(VALU_DEP_3)
	v_fmac_f32_e32 v7, v22, v12
	v_fma_f32 v8, v22, v13, -v8
	s_delay_alu instid0(VALU_DEP_4) | instskip(SKIP_2) | instid1(VALU_DEP_4)
	v_fmac_f32_e32 v9, v16, v14
	v_mul_f32_e32 v12, v17, v14
	v_mul_f32_e32 v14, v19, v55
	v_add_f32_e32 v26, v6, v8
	s_delay_alu instid0(VALU_DEP_3) | instskip(NEXT) | instid1(VALU_DEP_3)
	v_fma_f32 v12, v16, v15, -v12
	v_dual_fmac_f32 v14, v18, v54 :: v_dual_add_f32 v13, v31, v7
	s_delay_alu instid0(VALU_DEP_1) | instskip(NEXT) | instid1(VALU_DEP_2)
	v_add_f32_e32 v22, v2, v14
	v_fma_f32 v13, -0.5, v13, v0
	v_mul_f32_e32 v11, v19, v54
	v_sub_f32_e32 v24, v7, v14
	s_delay_alu instid0(VALU_DEP_2) | instskip(SKIP_1) | instid1(VALU_DEP_2)
	v_fma_f32 v11, v18, v55, -v11
	v_dual_sub_f32 v18, v6, v8 :: v_dual_add_f32 v19, v0, v2
	v_dual_mul_f32 v17, v90, v57 :: v_dual_sub_f32 v20, v4, v11
	v_sub_f32_e32 v21, v14, v7
	s_delay_alu instid0(VALU_DEP_3) | instskip(NEXT) | instid1(VALU_DEP_3)
	v_add_f32_e32 v15, v19, v31
	v_dual_sub_f32 v19, v2, v31 :: v_dual_fmamk_f32 v16, v20, 0xbf737871, v13
	s_delay_alu instid0(VALU_DEP_4) | instskip(SKIP_1) | instid1(VALU_DEP_3)
	v_fmac_f32_e32 v17, v89, v56
	v_fmac_f32_e32 v13, 0x3f737871, v20
	v_add_f32_e32 v19, v19, v21
	v_fma_f32 v21, -0.5, v22, v0
	v_dual_fmac_f32 v16, 0xbf167918, v18 :: v_dual_mul_f32 v23, v90, v56
	s_delay_alu instid0(VALU_DEP_4) | instskip(NEXT) | instid1(VALU_DEP_3)
	v_fmac_f32_e32 v13, 0x3f167918, v18
	v_fmamk_f32 v22, v18, 0x3f737871, v21
	v_fmac_f32_e32 v21, 0xbf737871, v18
	s_delay_alu instid0(VALU_DEP_4) | instskip(SKIP_1) | instid1(VALU_DEP_4)
	v_fmac_f32_e32 v16, 0x3e9e377a, v19
	v_fma_f32 v0, v89, v57, -v23
	v_fmac_f32_e32 v22, 0xbf167918, v20
	s_delay_alu instid0(VALU_DEP_4) | instskip(SKIP_4) | instid1(VALU_DEP_3)
	v_dual_fmac_f32 v21, 0x3f167918, v20 :: v_dual_sub_f32 v20, v4, v6
	v_dual_add_f32 v15, v15, v7 :: v_dual_add_f32 v18, v25, v6
	v_sub_f32_e32 v23, v31, v2
	v_dual_sub_f32 v2, v2, v14 :: v_dual_sub_f32 v7, v31, v7
	v_sub_f32_e32 v27, v12, v0
	v_add_f32_e32 v23, v23, v24
	v_add_f32_e32 v15, v15, v14
	v_fma_f32 v24, -0.5, v26, v1
	v_add_f32_e32 v14, v18, v8
	v_add_f32_e32 v18, v4, v11
	v_sub_f32_e32 v4, v6, v4
	v_sub_f32_e32 v6, v8, v11
	s_delay_alu instid0(VALU_DEP_4) | instskip(SKIP_1) | instid1(VALU_DEP_3)
	v_add_f32_e32 v26, v14, v11
	v_fmac_f32_e32 v13, 0x3e9e377a, v19
	v_dual_fmamk_f32 v19, v2, 0x3f737871, v24 :: v_dual_add_f32 v4, v4, v6
	v_fmac_f32_e32 v24, 0xbf737871, v2
	v_dual_fmac_f32 v22, 0x3e9e377a, v23 :: v_dual_sub_f32 v25, v11, v8
	v_dual_add_f32 v8, v49, v29 :: v_dual_fmac_f32 v21, 0x3e9e377a, v23
	v_fma_f32 v23, -0.5, v18, v1
	s_delay_alu instid0(VALU_DEP_3) | instskip(NEXT) | instid1(VALU_DEP_3)
	v_add_f32_e32 v1, v20, v25
	v_add_f32_e32 v6, v8, v48
	v_sub_f32_e32 v8, v48, v29
	s_delay_alu instid0(VALU_DEP_4) | instskip(NEXT) | instid1(VALU_DEP_1)
	v_fmamk_f32 v20, v7, 0xbf737871, v23
	v_dual_fmac_f32 v20, 0x3f167918, v2 :: v_dual_fmac_f32 v19, 0x3f167918, v7
	v_fmac_f32_e32 v24, 0xbf167918, v7
	v_fmac_f32_e32 v23, 0x3f737871, v7
	s_delay_alu instid0(VALU_DEP_3) | instskip(NEXT) | instid1(VALU_DEP_2)
	v_dual_add_f32 v7, v48, v9 :: v_dual_fmac_f32 v20, 0x3e9e377a, v4
	v_fmac_f32_e32 v23, 0xbf167918, v2
	s_delay_alu instid0(VALU_DEP_4) | instskip(NEXT) | instid1(VALU_DEP_3)
	v_fmac_f32_e32 v24, 0x3e9e377a, v1
	v_fma_f32 v7, -0.5, v7, v49
	v_add_f32_e32 v2, v29, v17
	v_fmac_f32_e32 v19, 0x3e9e377a, v1
	v_dual_add_f32 v1, v6, v9 :: v_dual_sub_f32 v6, v5, v0
	v_dual_fmac_f32 v23, 0x3e9e377a, v4 :: v_dual_sub_f32 v4, v17, v9
	s_delay_alu instid0(VALU_DEP_2) | instskip(SKIP_3) | instid1(VALU_DEP_3)
	v_dual_add_f32 v11, v1, v17 :: v_dual_fmamk_f32 v14, v6, 0xbf737871, v7
	v_sub_f32_e32 v1, v10, v12
	v_dual_fmac_f32 v49, -0.5, v2 :: v_dual_sub_f32 v2, v29, v48
	v_fmac_f32_e32 v7, 0x3f737871, v6
	v_fmac_f32_e32 v14, 0xbf167918, v1
	s_delay_alu instid0(VALU_DEP_3) | instskip(NEXT) | instid1(VALU_DEP_4)
	v_fmamk_f32 v18, v1, 0x3f737871, v49
	v_dual_add_f32 v2, v2, v4 :: v_dual_sub_f32 v25, v9, v17
	s_delay_alu instid0(VALU_DEP_4) | instskip(SKIP_1) | instid1(VALU_DEP_4)
	v_fmac_f32_e32 v7, 0x3f167918, v1
	v_fmac_f32_e32 v49, 0xbf737871, v1
	v_dual_add_f32 v1, v10, v12 :: v_dual_fmac_f32 v18, 0xbf167918, v6
	s_delay_alu instid0(VALU_DEP_4) | instskip(NEXT) | instid1(VALU_DEP_4)
	v_fmac_f32_e32 v14, 0x3e9e377a, v2
	v_dual_add_f32 v4, v8, v25 :: v_dual_fmac_f32 v7, 0x3e9e377a, v2
	v_add_f32_e32 v2, v5, v0
	s_delay_alu instid0(VALU_DEP_4) | instskip(SKIP_1) | instid1(VALU_DEP_4)
	v_fma_f32 v1, -0.5, v1, v3
	v_add_f32_e32 v8, v3, v5
	v_dual_fmac_f32 v18, 0x3e9e377a, v4 :: v_dual_sub_f32 v9, v48, v9
	s_delay_alu instid0(VALU_DEP_4) | instskip(SKIP_3) | instid1(VALU_DEP_2)
	v_fmac_f32_e32 v3, -0.5, v2
	v_sub_f32_e32 v2, v5, v10
	v_dual_fmac_f32 v49, 0x3f167918, v6 :: v_dual_sub_f32 v6, v29, v17
	v_sub_f32_e32 v5, v10, v5
	v_fmac_f32_e32 v49, 0x3e9e377a, v4
	s_delay_alu instid0(VALU_DEP_3) | instskip(SKIP_1) | instid1(VALU_DEP_2)
	v_dual_fmamk_f32 v17, v6, 0x3f737871, v1 :: v_dual_sub_f32 v4, v0, v12
	v_fmamk_f32 v25, v9, 0xbf737871, v3
	v_dual_fmac_f32 v17, 0x3f167918, v9 :: v_dual_add_f32 v2, v2, v4
	s_delay_alu instid0(VALU_DEP_2) | instskip(SKIP_2) | instid1(VALU_DEP_3)
	v_dual_fmac_f32 v25, 0x3f167918, v6 :: v_dual_add_f32 v4, v5, v27
	v_add_f32_e32 v5, v8, v10
	v_dual_fmac_f32 v3, 0x3f737871, v9 :: v_dual_sub_f32 v10, v15, v11
	v_fmac_f32_e32 v25, 0x3e9e377a, v4
	s_delay_alu instid0(VALU_DEP_1) | instskip(NEXT) | instid1(VALU_DEP_1)
	v_mul_f32_e32 v27, 0xbf737871, v25
	v_fmac_f32_e32 v27, 0x3e9e377a, v18
	v_fmac_f32_e32 v1, 0xbf737871, v6
	s_delay_alu instid0(VALU_DEP_1) | instskip(NEXT) | instid1(VALU_DEP_1)
	v_fmac_f32_e32 v1, 0xbf167918, v9
	v_fmac_f32_e32 v1, 0x3e9e377a, v2
	s_delay_alu instid0(VALU_DEP_1) | instskip(NEXT) | instid1(VALU_DEP_1)
	v_dual_fmac_f32 v3, 0xbf167918, v6 :: v_dual_mul_f32 v30, 0xbf167918, v1
	v_fmac_f32_e32 v3, 0x3e9e377a, v4
	s_delay_alu instid0(VALU_DEP_1) | instskip(NEXT) | instid1(VALU_DEP_1)
	v_mul_f32_e32 v28, 0xbf737871, v3
	v_dual_mul_f32 v31, 0xbe9e377a, v3 :: v_dual_fmac_f32 v28, 0xbe9e377a, v49
	s_delay_alu instid0(VALU_DEP_1) | instskip(NEXT) | instid1(VALU_DEP_2)
	v_dual_add_f32 v4, v5, v12 :: v_dual_fmac_f32 v31, 0x3f737871, v49
	v_add_f32_e32 v6, v21, v28
	s_delay_alu instid0(VALU_DEP_2) | instskip(SKIP_1) | instid1(VALU_DEP_1)
	v_dual_add_f32 v29, v4, v0 :: v_dual_add_f32 v0, v15, v11
	v_dual_fmac_f32 v17, 0x3e9e377a, v2 :: v_dual_add_f32 v4, v22, v27
	v_mul_f32_e32 v12, 0xbf167918, v17
	s_delay_alu instid0(VALU_DEP_1) | instskip(SKIP_2) | instid1(VALU_DEP_3)
	v_fmac_f32_e32 v12, 0x3f4f1bbd, v14
	v_fmac_f32_e32 v30, 0xbf4f1bbd, v7
	v_mul_f32_e32 v17, 0x3f4f1bbd, v17
	v_dual_sub_f32 v11, v26, v29 :: v_dual_add_f32 v2, v16, v12
	s_delay_alu instid0(VALU_DEP_2) | instskip(SKIP_4) | instid1(VALU_DEP_3)
	v_dual_sub_f32 v12, v16, v12 :: v_dual_fmac_f32 v17, 0x3f167918, v14
	v_sub_f32_e32 v14, v22, v27
	v_mul_f32_e32 v48, 0xbf4f1bbd, v1
	v_dual_add_f32 v1, v26, v29 :: v_dual_add_f32 v8, v13, v30
	v_dual_mul_f32 v25, 0x3e9e377a, v25 :: v_dual_sub_f32 v16, v13, v30
	v_fmac_f32_e32 v48, 0x3f167918, v7
	v_add_f32_e32 v7, v23, v31
	v_add_f32_e32 v3, v19, v17
	s_delay_alu instid0(VALU_DEP_4) | instskip(NEXT) | instid1(VALU_DEP_4)
	v_dual_fmac_f32 v25, 0x3f737871, v18 :: v_dual_sub_f32 v18, v21, v28
	v_add_f32_e32 v9, v24, v48
	v_sub_f32_e32 v13, v19, v17
	v_add_nc_u32_e32 v21, 0x800, v107
	s_delay_alu instid0(VALU_DEP_4)
	v_dual_add_f32 v5, v20, v25 :: v_dual_add_nc_u32 v22, 0xc00, v107
	v_dual_sub_f32 v15, v20, v25 :: v_dual_add_nc_u32 v20, 0x400, v107
	v_sub_f32_e32 v19, v23, v31
	v_sub_f32_e32 v17, v24, v48
	ds_store_2addr_b64 v107, v[0:1], v[2:3] offset1:60
	ds_store_2addr_b64 v107, v[4:5], v[6:7] offset0:120 offset1:180
	ds_store_2addr_b64 v20, v[8:9], v[10:11] offset0:112 offset1:172
	;; [unrolled: 1-line block ×4, first 2 shown]
	v_add_nc_u32_e32 v0, 0xb00, v102
	v_add_nc_u32_e32 v8, 0x2400, v102
	v_add_nc_u32_e32 v20, 0x1800, v102
	global_wb scope:SCOPE_SE
	s_wait_dscnt 0x0
	s_barrier_signal -1
	s_barrier_wait -1
	global_inv scope:SCOPE_SE
	ds_load_2addr_b64 v[4:7], v102 offset1:180
	ds_load_2addr_b64 v[0:3], v0 offset0:8 offset1:248
	ds_load_2addr_b64 v[12:15], v8 offset0:48 offset1:228
	;; [unrolled: 1-line block ×3, first 2 shown]
	ds_load_b64 v[18:19], v102 offset:12480
	s_and_saveexec_b32 s1, s0
	s_cbranch_execz .LBB0_15
; %bb.14:
	ds_load_b64 v[16:17], v102 offset:4320
	ds_load_b64 v[50:51], v102 offset:9120
	ds_load_b64 v[52:53], v102 offset:13920
.LBB0_15:
	s_wait_alu 0xfffe
	s_or_b32 exec_lo, exec_lo, s1
	s_wait_dscnt 0x2
	v_dual_mul_f32 v21, v45, v3 :: v_dual_mul_f32 v24, v47, v12
	v_dual_mul_f32 v22, v45, v2 :: v_dual_mul_f32 v23, v47, v13
	s_wait_dscnt 0x1
	v_mul_f32_e32 v25, v37, v11
	s_delay_alu instid0(VALU_DEP_3) | instskip(NEXT) | instid1(VALU_DEP_3)
	v_dual_fmac_f32 v21, v44, v2 :: v_dual_mul_f32 v2, v41, v8
	v_fma_f32 v3, v44, v3, -v22
	v_dual_mul_f32 v22, v41, v9 :: v_dual_fmac_f32 v23, v46, v12
	v_fma_f32 v12, v46, v13, -v24
	v_mul_f32_e32 v13, v43, v15
	v_fma_f32 v24, v40, v9, -v2
	s_delay_alu instid0(VALU_DEP_4)
	v_fmac_f32_e32 v22, v40, v8
	v_mul_f32_e32 v8, v43, v14
	v_mul_f32_e32 v2, v37, v10
	v_fmac_f32_e32 v13, v42, v14
	v_add_f32_e32 v9, v4, v21
	v_fmac_f32_e32 v25, v36, v10
	v_fma_f32 v14, v42, v15, -v8
	s_wait_dscnt 0x0
	v_mul_f32_e32 v15, v39, v19
	v_mul_f32_e32 v8, v39, v18
	v_fma_f32 v26, v36, v11, -v2
	v_add_f32_e32 v2, v21, v23
	s_delay_alu instid0(VALU_DEP_4) | instskip(NEXT) | instid1(VALU_DEP_4)
	v_dual_sub_f32 v10, v3, v12 :: v_dual_fmac_f32 v15, v38, v18
	v_fma_f32 v19, v38, v19, -v8
	v_add_f32_e32 v8, v3, v12
	s_delay_alu instid0(VALU_DEP_4)
	v_fma_f32 v2, -0.5, v2, v4
	v_sub_f32_e32 v11, v21, v23
	v_add_f32_e32 v4, v9, v23
	v_add_f32_e32 v9, v5, v3
	v_fma_f32 v3, -0.5, v8, v5
	v_fmamk_f32 v8, v10, 0xbf5db3d7, v2
	v_fmac_f32_e32 v2, 0x3f5db3d7, v10
	s_delay_alu instid0(VALU_DEP_4) | instskip(NEXT) | instid1(VALU_DEP_4)
	v_dual_add_f32 v10, v22, v13 :: v_dual_add_f32 v5, v9, v12
	v_dual_fmamk_f32 v9, v11, 0x3f5db3d7, v3 :: v_dual_add_f32 v12, v6, v22
	v_fmac_f32_e32 v3, 0xbf5db3d7, v11
	v_dual_add_f32 v11, v24, v14 :: v_dual_sub_f32 v22, v22, v13
	s_delay_alu instid0(VALU_DEP_4) | instskip(SKIP_1) | instid1(VALU_DEP_3)
	v_fma_f32 v6, -0.5, v10, v6
	v_dual_sub_f32 v18, v24, v14 :: v_dual_add_f32 v21, v7, v24
	v_dual_add_f32 v10, v12, v13 :: v_dual_fmac_f32 v7, -0.5, v11
	s_delay_alu instid0(VALU_DEP_2) | instskip(NEXT) | instid1(VALU_DEP_3)
	v_dual_add_f32 v23, v1, v26 :: v_dual_fmamk_f32 v12, v18, 0xbf5db3d7, v6
	v_add_f32_e32 v11, v21, v14
	v_add_f32_e32 v14, v25, v15
	s_delay_alu instid0(VALU_DEP_4) | instskip(SKIP_2) | instid1(VALU_DEP_4)
	v_dual_fmac_f32 v6, 0x3f5db3d7, v18 :: v_dual_fmamk_f32 v13, v22, 0x3f5db3d7, v7
	v_dual_add_f32 v18, v26, v19 :: v_dual_add_f32 v21, v0, v25
	v_fmac_f32_e32 v7, 0xbf5db3d7, v22
	v_fma_f32 v0, -0.5, v14, v0
	s_delay_alu instid0(VALU_DEP_3) | instskip(SKIP_2) | instid1(VALU_DEP_3)
	v_dual_sub_f32 v22, v26, v19 :: v_dual_fmac_f32 v1, -0.5, v18
	v_sub_f32_e32 v24, v25, v15
	v_add_f32_e32 v14, v21, v15
	v_dual_add_f32 v15, v23, v19 :: v_dual_fmamk_f32 v18, v22, 0xbf5db3d7, v0
	s_delay_alu instid0(VALU_DEP_3)
	v_dual_fmac_f32 v0, 0x3f5db3d7, v22 :: v_dual_fmamk_f32 v19, v24, 0x3f5db3d7, v1
	v_fmac_f32_e32 v1, 0xbf5db3d7, v24
	ds_store_b64 v102, v[8:9] offset:4800
	ds_store_b64 v102, v[2:3] offset:9600
	ds_store_2addr_b64 v102, v[4:5], v[10:11] offset1:180
	ds_store_b64 v102, v[6:7] offset:11040
	ds_store_b64 v102, v[14:15] offset:2880
	ds_store_2addr_b64 v20, v[12:13], v[18:19] offset0:12 offset1:192
	ds_store_b64 v102, v[0:1] offset:12480
	s_and_saveexec_b32 s1, s0
	s_cbranch_execz .LBB0_17
; %bb.16:
	v_dual_mul_f32 v0, v33, v50 :: v_dual_mul_f32 v1, v35, v52
	s_delay_alu instid0(VALU_DEP_1) | instskip(NEXT) | instid1(VALU_DEP_2)
	v_fma_f32 v0, v32, v51, -v0
	v_fma_f32 v3, v34, v53, -v1
	s_delay_alu instid0(VALU_DEP_2) | instskip(NEXT) | instid1(VALU_DEP_1)
	v_dual_mul_f32 v4, v35, v53 :: v_dual_add_f32 v7, v17, v0
	v_dual_add_f32 v1, v0, v3 :: v_dual_fmac_f32 v4, v34, v52
	s_delay_alu instid0(VALU_DEP_1) | instskip(SKIP_2) | instid1(VALU_DEP_2)
	v_fma_f32 v1, -0.5, v1, v17
	v_mul_f32_e32 v2, v33, v51
	v_sub_f32_e32 v8, v0, v3
	v_dual_add_f32 v3, v7, v3 :: v_dual_fmac_f32 v2, v32, v50
	s_delay_alu instid0(VALU_DEP_1) | instskip(SKIP_2) | instid1(VALU_DEP_3)
	v_add_f32_e32 v5, v2, v4
	v_sub_f32_e32 v6, v2, v4
	v_add_f32_e32 v2, v16, v2
	v_fma_f32 v0, -0.5, v5, v16
	s_delay_alu instid0(VALU_DEP_3) | instskip(NEXT) | instid1(VALU_DEP_3)
	v_fmamk_f32 v5, v6, 0xbf5db3d7, v1
	v_dual_add_f32 v2, v2, v4 :: v_dual_fmac_f32 v1, 0x3f5db3d7, v6
	s_delay_alu instid0(VALU_DEP_3)
	v_fmamk_f32 v4, v8, 0x3f5db3d7, v0
	v_fmac_f32_e32 v0, 0xbf5db3d7, v8
	ds_store_b64 v102, v[2:3] offset:4320
	ds_store_b64 v102, v[0:1] offset:9120
	;; [unrolled: 1-line block ×3, first 2 shown]
.LBB0_17:
	s_wait_alu 0xfffe
	s_or_b32 exec_lo, exec_lo, s1
	global_wb scope:SCOPE_SE
	s_wait_dscnt 0x0
	s_barrier_signal -1
	s_barrier_wait -1
	global_inv scope:SCOPE_SE
	ds_load_2addr_b64 v[0:3], v102 offset1:180
	v_add_nc_u32_e32 v4, 0xa00, v102
	s_mov_b32 s0, 0x789abcdf
	s_mov_b32 s1, 0x3f423456
	v_add_nc_u32_e32 v8, 0x1600, v102
	v_mad_co_u64_u32 v[16:17], null, s6, v64, 0
	v_mad_co_u64_u32 v[42:43], null, s4, v101, 0
	s_wait_dscnt 0x0
	v_dual_mul_f32 v18, v74, v1 :: v_dual_mul_f32 v21, v76, v2
	v_mul_f32_e32 v19, v74, v0
	ds_load_2addr_b64 v[4:7], v4 offset0:40 offset1:220
	ds_load_2addr_b64 v[8:11], v8 offset0:16 offset1:196
	v_mul_f32_e32 v20, v76, v3
	v_fmac_f32_e32 v18, v73, v0
	v_fma_f32 v0, v73, v1, -v19
	v_fma_f32 v1, v75, v3, -v21
	s_delay_alu instid0(VALU_DEP_1)
	v_cvt_f64_f32_e32 v[22:23], v1
	v_add_nc_u32_e32 v1, 0x2c00, v102
	v_cvt_f64_f32_e32 v[18:19], v18
	s_wait_dscnt 0x1
	v_mul_f32_e32 v29, v66, v6
	v_fmac_f32_e32 v20, v75, v2
	v_mul_f32_e32 v2, v80, v5
	v_dual_mul_f32 v3, v80, v4 :: v_dual_mul_f32 v28, v66, v7
	s_wait_dscnt 0x0
	v_mul_f32_e32 v33, v72, v10
	v_fma_f32 v29, v65, v7, -v29
	v_mul_f32_e32 v32, v72, v11
	v_fma_f32 v3, v79, v5, -v3
	v_fmac_f32_e32 v28, v65, v6
	v_fma_f32 v33, v71, v11, -v33
	s_delay_alu instid0(VALU_DEP_4) | instskip(NEXT) | instid1(VALU_DEP_4)
	v_fmac_f32_e32 v32, v71, v10
	v_cvt_f64_f32_e32 v[26:27], v3
	s_delay_alu instid0(VALU_DEP_4) | instskip(NEXT) | instid1(VALU_DEP_3)
	v_cvt_f64_f32_e32 v[6:7], v28
	v_cvt_f64_f32_e32 v[10:11], v32
	s_wait_alu 0xfffe
	v_mul_f64_e32 v[22:23], s[0:1], v[22:23]
	v_mul_f64_e32 v[18:19], s[0:1], v[18:19]
	;; [unrolled: 1-line block ×5, first 2 shown]
	s_delay_alu instid0(VALU_DEP_4) | instskip(SKIP_3) | instid1(VALU_DEP_3)
	v_mad_co_u64_u32 v[44:45], null, s7, v64, v[17:18]
	v_mov_b32_e32 v17, v43
	v_fmac_f32_e32 v2, v79, v4
	v_cvt_f64_f32_e32 v[4:5], v0
	v_mad_co_u64_u32 v[45:46], null, s5, v101, v[17:18]
	v_dual_mov_b32 v17, v44 :: v_dual_mul_f32 v0, v70, v8
	s_delay_alu instid0(VALU_DEP_4) | instskip(SKIP_1) | instid1(VALU_DEP_3)
	v_cvt_f64_f32_e32 v[24:25], v2
	v_cvt_f32_f64_e32 v18, v[18:19]
	v_lshlrev_b64_e32 v[16:17], 3, v[16:17]
	v_mov_b32_e32 v43, v45
	v_fma_f32 v31, v69, v9, -v0
	ds_load_2addr_b64 v[0:3], v1 offset0:32 offset1:212
	v_add_nc_u32_e32 v12, 0x2000, v102
	v_mul_f32_e32 v30, v70, v9
	v_lshlrev_b64_e32 v[42:43], 3, v[42:43]
	v_add_co_u32 v16, vcc_lo, s2, v16
	s_wait_alu 0xfffd
	v_add_co_ci_u32_e32 v17, vcc_lo, s3, v17, vcc_lo
	v_cvt_f32_f64_e32 v6, v[6:7]
	v_cvt_f32_f64_e32 v10, v[10:11]
	s_wait_dscnt 0x0
	v_mul_f32_e32 v41, v84, v2
	v_mul_f32_e32 v39, v82, v0
	ds_load_2addr_b64 v[12:15], v12 offset0:56 offset1:236
	v_fmac_f32_e32 v30, v69, v8
	v_cvt_f64_f32_e32 v[8:9], v29
	v_mul_f32_e32 v38, v82, v1
	v_mul_f32_e32 v40, v84, v3
	v_fma_f32 v41, v83, v3, -v41
	v_cvt_f64_f32_e32 v[28:29], v30
	v_cvt_f64_f32_e32 v[30:31], v31
	v_fmac_f32_e32 v38, v81, v0
	v_fmac_f32_e32 v40, v83, v2
	v_mul_f64_e32 v[4:5], s[0:1], v[4:5]
	v_mul_f64_e32 v[24:25], s[0:1], v[24:25]
	s_delay_alu instid0(VALU_DEP_4)
	v_cvt_f64_f32_e32 v[2:3], v38
	s_wait_dscnt 0x0
	v_mul_f32_e32 v35, v78, v12
	v_cvt_f64_f32_e32 v[20:21], v20
	v_mul_f32_e32 v36, v68, v15
	v_mul_f32_e32 v34, v78, v13
	s_delay_alu instid0(VALU_DEP_4) | instskip(NEXT) | instid1(VALU_DEP_3)
	v_fma_f32 v35, v77, v13, -v35
	v_fmac_f32_e32 v36, v67, v14
	v_mul_f32_e32 v14, v68, v14
	s_delay_alu instid0(VALU_DEP_4) | instskip(SKIP_1) | instid1(VALU_DEP_4)
	v_fmac_f32_e32 v34, v77, v12
	v_cvt_f64_f32_e32 v[12:13], v33
	v_cvt_f64_f32_e32 v[36:37], v36
	s_delay_alu instid0(VALU_DEP_4)
	v_fma_f32 v14, v67, v15, -v14
	v_fma_f32 v15, v81, v1, -v39
	v_cvt_f64_f32_e32 v[32:33], v34
	v_cvt_f64_f32_e32 v[34:35], v35
	;; [unrolled: 1-line block ×6, first 2 shown]
	v_mul_f64_e32 v[8:9], s[0:1], v[8:9]
	v_mul_f64_e32 v[28:29], s[0:1], v[28:29]
	;; [unrolled: 1-line block ×3, first 2 shown]
	v_cvt_f32_f64_e32 v19, v[4:5]
	v_add_co_u32 v4, vcc_lo, v16, v42
	v_mul_f64_e32 v[2:3], s[0:1], v[2:3]
	s_wait_alu 0xfffd
	v_add_co_ci_u32_e32 v5, vcc_lo, v17, v43, vcc_lo
	v_cvt_f32_f64_e32 v17, v[22:23]
	v_cvt_f32_f64_e32 v22, v[24:25]
	v_cvt_f32_f64_e32 v23, v[26:27]
	v_mul_f64_e32 v[20:21], s[0:1], v[20:21]
	v_mul_f64_e32 v[12:13], s[0:1], v[12:13]
	;; [unrolled: 1-line block ×9, first 2 shown]
	v_cvt_f32_f64_e32 v7, v[8:9]
	s_mul_u64 s[0:1], s[4:5], 0x5a0
	v_cvt_f32_f64_e32 v24, v[28:29]
	v_cvt_f32_f64_e32 v25, v[30:31]
	global_store_b64 v[4:5], v[18:19], off
	v_cvt_f32_f64_e32 v16, v[20:21]
	s_wait_alu 0xfffe
	v_add_co_u32 v20, vcc_lo, v4, s0
	s_wait_alu 0xfffd
	v_add_co_ci_u32_e32 v21, vcc_lo, s1, v5, vcc_lo
	s_delay_alu instid0(VALU_DEP_2) | instskip(SKIP_1) | instid1(VALU_DEP_2)
	v_add_co_u32 v8, vcc_lo, v20, s0
	s_wait_alu 0xfffd
	v_add_co_ci_u32_e32 v9, vcc_lo, s1, v21, vcc_lo
	v_cvt_f32_f64_e32 v11, v[12:13]
	v_cvt_f32_f64_e32 v26, v[36:37]
	;; [unrolled: 1-line block ×9, first 2 shown]
	v_add_co_u32 v14, vcc_lo, v8, s0
	s_wait_alu 0xfffd
	v_add_co_ci_u32_e32 v15, vcc_lo, s1, v9, vcc_lo
	s_delay_alu instid0(VALU_DEP_2) | instskip(SKIP_1) | instid1(VALU_DEP_2)
	v_add_co_u32 v28, vcc_lo, v14, s0
	s_wait_alu 0xfffd
	v_add_co_ci_u32_e32 v29, vcc_lo, s1, v15, vcc_lo
	s_delay_alu instid0(VALU_DEP_2) | instskip(SKIP_1) | instid1(VALU_DEP_2)
	v_add_co_u32 v4, vcc_lo, v28, s0
	s_wait_alu 0xfffd
	v_add_co_ci_u32_e32 v5, vcc_lo, s1, v29, vcc_lo
	global_store_b64 v[20:21], v[16:17], off
	v_add_co_u32 v16, vcc_lo, v4, s0
	s_wait_alu 0xfffd
	v_add_co_ci_u32_e32 v17, vcc_lo, s1, v5, vcc_lo
	global_store_b64 v[8:9], v[22:23], off
	;; [unrolled: 4-line block ×5, first 2 shown]
	global_store_b64 v[16:17], v[12:13], off
	global_store_b64 v[8:9], v[26:27], off
	;; [unrolled: 1-line block ×4, first 2 shown]
.LBB0_18:
	s_nop 0
	s_sendmsg sendmsg(MSG_DEALLOC_VGPRS)
	s_endpgm
	.section	.rodata,"a",@progbits
	.p2align	6, 0x0
	.amdhsa_kernel bluestein_single_fwd_len1800_dim1_sp_op_CI_CI
		.amdhsa_group_segment_fixed_size 14400
		.amdhsa_private_segment_fixed_size 0
		.amdhsa_kernarg_size 104
		.amdhsa_user_sgpr_count 2
		.amdhsa_user_sgpr_dispatch_ptr 0
		.amdhsa_user_sgpr_queue_ptr 0
		.amdhsa_user_sgpr_kernarg_segment_ptr 1
		.amdhsa_user_sgpr_dispatch_id 0
		.amdhsa_user_sgpr_private_segment_size 0
		.amdhsa_wavefront_size32 1
		.amdhsa_uses_dynamic_stack 0
		.amdhsa_enable_private_segment 0
		.amdhsa_system_sgpr_workgroup_id_x 1
		.amdhsa_system_sgpr_workgroup_id_y 0
		.amdhsa_system_sgpr_workgroup_id_z 0
		.amdhsa_system_sgpr_workgroup_info 0
		.amdhsa_system_vgpr_workitem_id 0
		.amdhsa_next_free_vgpr 138
		.amdhsa_next_free_sgpr 20
		.amdhsa_reserve_vcc 1
		.amdhsa_float_round_mode_32 0
		.amdhsa_float_round_mode_16_64 0
		.amdhsa_float_denorm_mode_32 3
		.amdhsa_float_denorm_mode_16_64 3
		.amdhsa_fp16_overflow 0
		.amdhsa_workgroup_processor_mode 1
		.amdhsa_memory_ordered 1
		.amdhsa_forward_progress 0
		.amdhsa_round_robin_scheduling 0
		.amdhsa_exception_fp_ieee_invalid_op 0
		.amdhsa_exception_fp_denorm_src 0
		.amdhsa_exception_fp_ieee_div_zero 0
		.amdhsa_exception_fp_ieee_overflow 0
		.amdhsa_exception_fp_ieee_underflow 0
		.amdhsa_exception_fp_ieee_inexact 0
		.amdhsa_exception_int_div_zero 0
	.end_amdhsa_kernel
	.text
.Lfunc_end0:
	.size	bluestein_single_fwd_len1800_dim1_sp_op_CI_CI, .Lfunc_end0-bluestein_single_fwd_len1800_dim1_sp_op_CI_CI
                                        ; -- End function
	.section	.AMDGPU.csdata,"",@progbits
; Kernel info:
; codeLenInByte = 11520
; NumSgprs: 22
; NumVgprs: 138
; ScratchSize: 0
; MemoryBound: 0
; FloatMode: 240
; IeeeMode: 1
; LDSByteSize: 14400 bytes/workgroup (compile time only)
; SGPRBlocks: 2
; VGPRBlocks: 17
; NumSGPRsForWavesPerEU: 22
; NumVGPRsForWavesPerEU: 138
; Occupancy: 10
; WaveLimiterHint : 1
; COMPUTE_PGM_RSRC2:SCRATCH_EN: 0
; COMPUTE_PGM_RSRC2:USER_SGPR: 2
; COMPUTE_PGM_RSRC2:TRAP_HANDLER: 0
; COMPUTE_PGM_RSRC2:TGID_X_EN: 1
; COMPUTE_PGM_RSRC2:TGID_Y_EN: 0
; COMPUTE_PGM_RSRC2:TGID_Z_EN: 0
; COMPUTE_PGM_RSRC2:TIDIG_COMP_CNT: 0
	.text
	.p2alignl 7, 3214868480
	.fill 96, 4, 3214868480
	.type	__hip_cuid_5cb8c40f76b127fc,@object ; @__hip_cuid_5cb8c40f76b127fc
	.section	.bss,"aw",@nobits
	.globl	__hip_cuid_5cb8c40f76b127fc
__hip_cuid_5cb8c40f76b127fc:
	.byte	0                               ; 0x0
	.size	__hip_cuid_5cb8c40f76b127fc, 1

	.ident	"AMD clang version 19.0.0git (https://github.com/RadeonOpenCompute/llvm-project roc-6.4.0 25133 c7fe45cf4b819c5991fe208aaa96edf142730f1d)"
	.section	".note.GNU-stack","",@progbits
	.addrsig
	.addrsig_sym __hip_cuid_5cb8c40f76b127fc
	.amdgpu_metadata
---
amdhsa.kernels:
  - .args:
      - .actual_access:  read_only
        .address_space:  global
        .offset:         0
        .size:           8
        .value_kind:     global_buffer
      - .actual_access:  read_only
        .address_space:  global
        .offset:         8
        .size:           8
        .value_kind:     global_buffer
      - .actual_access:  read_only
        .address_space:  global
        .offset:         16
        .size:           8
        .value_kind:     global_buffer
      - .actual_access:  read_only
        .address_space:  global
        .offset:         24
        .size:           8
        .value_kind:     global_buffer
      - .actual_access:  read_only
        .address_space:  global
        .offset:         32
        .size:           8
        .value_kind:     global_buffer
      - .offset:         40
        .size:           8
        .value_kind:     by_value
      - .address_space:  global
        .offset:         48
        .size:           8
        .value_kind:     global_buffer
      - .address_space:  global
        .offset:         56
        .size:           8
        .value_kind:     global_buffer
      - .address_space:  global
        .offset:         64
        .size:           8
        .value_kind:     global_buffer
      - .address_space:  global
        .offset:         72
        .size:           8
        .value_kind:     global_buffer
      - .offset:         80
        .size:           4
        .value_kind:     by_value
      - .address_space:  global
        .offset:         88
        .size:           8
        .value_kind:     global_buffer
      - .address_space:  global
        .offset:         96
        .size:           8
        .value_kind:     global_buffer
    .group_segment_fixed_size: 14400
    .kernarg_segment_align: 8
    .kernarg_segment_size: 104
    .language:       OpenCL C
    .language_version:
      - 2
      - 0
    .max_flat_workgroup_size: 180
    .name:           bluestein_single_fwd_len1800_dim1_sp_op_CI_CI
    .private_segment_fixed_size: 0
    .sgpr_count:     22
    .sgpr_spill_count: 0
    .symbol:         bluestein_single_fwd_len1800_dim1_sp_op_CI_CI.kd
    .uniform_work_group_size: 1
    .uses_dynamic_stack: false
    .vgpr_count:     138
    .vgpr_spill_count: 0
    .wavefront_size: 32
    .workgroup_processor_mode: 1
amdhsa.target:   amdgcn-amd-amdhsa--gfx1201
amdhsa.version:
  - 1
  - 2
...

	.end_amdgpu_metadata
